;; amdgpu-corpus repo=ROCm/rocFFT kind=compiled arch=gfx1030 opt=O3
	.text
	.amdgcn_target "amdgcn-amd-amdhsa--gfx1030"
	.amdhsa_code_object_version 6
	.protected	fft_rtc_back_len2700_factors_3_10_10_3_3_wgs_90_tpt_90_halfLds_half_op_CI_CI_unitstride_sbrr_C2R_dirReg ; -- Begin function fft_rtc_back_len2700_factors_3_10_10_3_3_wgs_90_tpt_90_halfLds_half_op_CI_CI_unitstride_sbrr_C2R_dirReg
	.globl	fft_rtc_back_len2700_factors_3_10_10_3_3_wgs_90_tpt_90_halfLds_half_op_CI_CI_unitstride_sbrr_C2R_dirReg
	.p2align	8
	.type	fft_rtc_back_len2700_factors_3_10_10_3_3_wgs_90_tpt_90_halfLds_half_op_CI_CI_unitstride_sbrr_C2R_dirReg,@function
fft_rtc_back_len2700_factors_3_10_10_3_3_wgs_90_tpt_90_halfLds_half_op_CI_CI_unitstride_sbrr_C2R_dirReg: ; @fft_rtc_back_len2700_factors_3_10_10_3_3_wgs_90_tpt_90_halfLds_half_op_CI_CI_unitstride_sbrr_C2R_dirReg
; %bb.0:
	s_clause 0x2
	s_load_dwordx4 s[12:15], s[4:5], 0x0
	s_load_dwordx4 s[8:11], s[4:5], 0x58
	;; [unrolled: 1-line block ×3, first 2 shown]
	v_mul_u32_u24_e32 v1, 0x2d9, v0
	v_mov_b32_e32 v3, 0
	v_add_nc_u32_sdwa v5, s6, v1 dst_sel:DWORD dst_unused:UNUSED_PAD src0_sel:DWORD src1_sel:WORD_1
	v_mov_b32_e32 v1, 0
	v_mov_b32_e32 v6, v3
	v_mov_b32_e32 v2, 0
	s_waitcnt lgkmcnt(0)
	v_cmp_lt_u64_e64 s0, s[14:15], 2
	s_and_b32 vcc_lo, exec_lo, s0
	s_cbranch_vccnz .LBB0_8
; %bb.1:
	s_load_dwordx2 s[0:1], s[4:5], 0x10
	v_mov_b32_e32 v1, 0
	v_mov_b32_e32 v2, 0
	s_add_u32 s2, s18, 8
	s_addc_u32 s3, s19, 0
	s_add_u32 s6, s16, 8
	s_addc_u32 s7, s17, 0
	v_mov_b32_e32 v27, v2
	v_mov_b32_e32 v26, v1
	s_mov_b64 s[22:23], 1
	s_waitcnt lgkmcnt(0)
	s_add_u32 s20, s0, 8
	s_addc_u32 s21, s1, 0
.LBB0_2:                                ; =>This Inner Loop Header: Depth=1
	s_load_dwordx2 s[24:25], s[20:21], 0x0
                                        ; implicit-def: $vgpr28_vgpr29
	s_mov_b32 s0, exec_lo
	s_waitcnt lgkmcnt(0)
	v_or_b32_e32 v4, s25, v6
	v_cmpx_ne_u64_e32 0, v[3:4]
	s_xor_b32 s1, exec_lo, s0
	s_cbranch_execz .LBB0_4
; %bb.3:                                ;   in Loop: Header=BB0_2 Depth=1
	v_cvt_f32_u32_e32 v4, s24
	v_cvt_f32_u32_e32 v7, s25
	s_sub_u32 s0, 0, s24
	s_subb_u32 s26, 0, s25
	v_fmac_f32_e32 v4, 0x4f800000, v7
	v_rcp_f32_e32 v4, v4
	v_mul_f32_e32 v4, 0x5f7ffffc, v4
	v_mul_f32_e32 v7, 0x2f800000, v4
	v_trunc_f32_e32 v7, v7
	v_fmac_f32_e32 v4, 0xcf800000, v7
	v_cvt_u32_f32_e32 v7, v7
	v_cvt_u32_f32_e32 v4, v4
	v_mul_lo_u32 v8, s0, v7
	v_mul_hi_u32 v9, s0, v4
	v_mul_lo_u32 v10, s26, v4
	v_add_nc_u32_e32 v8, v9, v8
	v_mul_lo_u32 v9, s0, v4
	v_add_nc_u32_e32 v8, v8, v10
	v_mul_hi_u32 v10, v4, v9
	v_mul_lo_u32 v11, v4, v8
	v_mul_hi_u32 v12, v4, v8
	v_mul_hi_u32 v13, v7, v9
	v_mul_lo_u32 v9, v7, v9
	v_mul_hi_u32 v14, v7, v8
	v_mul_lo_u32 v8, v7, v8
	v_add_co_u32 v10, vcc_lo, v10, v11
	v_add_co_ci_u32_e32 v11, vcc_lo, 0, v12, vcc_lo
	v_add_co_u32 v9, vcc_lo, v10, v9
	v_add_co_ci_u32_e32 v9, vcc_lo, v11, v13, vcc_lo
	v_add_co_ci_u32_e32 v10, vcc_lo, 0, v14, vcc_lo
	v_add_co_u32 v8, vcc_lo, v9, v8
	v_add_co_ci_u32_e32 v9, vcc_lo, 0, v10, vcc_lo
	v_add_co_u32 v4, vcc_lo, v4, v8
	v_add_co_ci_u32_e32 v7, vcc_lo, v7, v9, vcc_lo
	v_mul_hi_u32 v8, s0, v4
	v_mul_lo_u32 v10, s26, v4
	v_mul_lo_u32 v9, s0, v7
	v_add_nc_u32_e32 v8, v8, v9
	v_mul_lo_u32 v9, s0, v4
	v_add_nc_u32_e32 v8, v8, v10
	v_mul_hi_u32 v10, v4, v9
	v_mul_lo_u32 v11, v4, v8
	v_mul_hi_u32 v12, v4, v8
	v_mul_hi_u32 v13, v7, v9
	v_mul_lo_u32 v9, v7, v9
	v_mul_hi_u32 v14, v7, v8
	v_mul_lo_u32 v8, v7, v8
	v_add_co_u32 v10, vcc_lo, v10, v11
	v_add_co_ci_u32_e32 v11, vcc_lo, 0, v12, vcc_lo
	v_add_co_u32 v9, vcc_lo, v10, v9
	v_add_co_ci_u32_e32 v9, vcc_lo, v11, v13, vcc_lo
	v_add_co_ci_u32_e32 v10, vcc_lo, 0, v14, vcc_lo
	v_add_co_u32 v8, vcc_lo, v9, v8
	v_add_co_ci_u32_e32 v9, vcc_lo, 0, v10, vcc_lo
	v_add_co_u32 v4, vcc_lo, v4, v8
	v_add_co_ci_u32_e32 v11, vcc_lo, v7, v9, vcc_lo
	v_mul_hi_u32 v13, v5, v4
	v_mad_u64_u32 v[9:10], null, v6, v4, 0
	v_mad_u64_u32 v[7:8], null, v5, v11, 0
	;; [unrolled: 1-line block ×3, first 2 shown]
	v_add_co_u32 v4, vcc_lo, v13, v7
	v_add_co_ci_u32_e32 v7, vcc_lo, 0, v8, vcc_lo
	v_add_co_u32 v4, vcc_lo, v4, v9
	v_add_co_ci_u32_e32 v4, vcc_lo, v7, v10, vcc_lo
	v_add_co_ci_u32_e32 v7, vcc_lo, 0, v12, vcc_lo
	v_add_co_u32 v4, vcc_lo, v4, v11
	v_add_co_ci_u32_e32 v9, vcc_lo, 0, v7, vcc_lo
	v_mul_lo_u32 v10, s25, v4
	v_mad_u64_u32 v[7:8], null, s24, v4, 0
	v_mul_lo_u32 v11, s24, v9
	v_sub_co_u32 v7, vcc_lo, v5, v7
	v_add3_u32 v8, v8, v11, v10
	v_sub_nc_u32_e32 v10, v6, v8
	v_subrev_co_ci_u32_e64 v10, s0, s25, v10, vcc_lo
	v_add_co_u32 v11, s0, v4, 2
	v_add_co_ci_u32_e64 v12, s0, 0, v9, s0
	v_sub_co_u32 v13, s0, v7, s24
	v_sub_co_ci_u32_e32 v8, vcc_lo, v6, v8, vcc_lo
	v_subrev_co_ci_u32_e64 v10, s0, 0, v10, s0
	v_cmp_le_u32_e32 vcc_lo, s24, v13
	v_cmp_eq_u32_e64 s0, s25, v8
	v_cndmask_b32_e64 v13, 0, -1, vcc_lo
	v_cmp_le_u32_e32 vcc_lo, s25, v10
	v_cndmask_b32_e64 v14, 0, -1, vcc_lo
	v_cmp_le_u32_e32 vcc_lo, s24, v7
	;; [unrolled: 2-line block ×3, first 2 shown]
	v_cndmask_b32_e64 v15, 0, -1, vcc_lo
	v_cmp_eq_u32_e32 vcc_lo, s25, v10
	v_cndmask_b32_e64 v7, v15, v7, s0
	v_cndmask_b32_e32 v10, v14, v13, vcc_lo
	v_add_co_u32 v13, vcc_lo, v4, 1
	v_add_co_ci_u32_e32 v14, vcc_lo, 0, v9, vcc_lo
	v_cmp_ne_u32_e32 vcc_lo, 0, v10
	v_cndmask_b32_e32 v8, v14, v12, vcc_lo
	v_cndmask_b32_e32 v10, v13, v11, vcc_lo
	v_cmp_ne_u32_e32 vcc_lo, 0, v7
	v_cndmask_b32_e32 v29, v9, v8, vcc_lo
	v_cndmask_b32_e32 v28, v4, v10, vcc_lo
.LBB0_4:                                ;   in Loop: Header=BB0_2 Depth=1
	s_andn2_saveexec_b32 s0, s1
	s_cbranch_execz .LBB0_6
; %bb.5:                                ;   in Loop: Header=BB0_2 Depth=1
	v_cvt_f32_u32_e32 v4, s24
	s_sub_i32 s1, 0, s24
	v_mov_b32_e32 v29, v3
	v_rcp_iflag_f32_e32 v4, v4
	v_mul_f32_e32 v4, 0x4f7ffffe, v4
	v_cvt_u32_f32_e32 v4, v4
	v_mul_lo_u32 v7, s1, v4
	v_mul_hi_u32 v7, v4, v7
	v_add_nc_u32_e32 v4, v4, v7
	v_mul_hi_u32 v4, v5, v4
	v_mul_lo_u32 v7, v4, s24
	v_add_nc_u32_e32 v8, 1, v4
	v_sub_nc_u32_e32 v7, v5, v7
	v_subrev_nc_u32_e32 v9, s24, v7
	v_cmp_le_u32_e32 vcc_lo, s24, v7
	v_cndmask_b32_e32 v7, v7, v9, vcc_lo
	v_cndmask_b32_e32 v4, v4, v8, vcc_lo
	v_cmp_le_u32_e32 vcc_lo, s24, v7
	v_add_nc_u32_e32 v8, 1, v4
	v_cndmask_b32_e32 v28, v4, v8, vcc_lo
.LBB0_6:                                ;   in Loop: Header=BB0_2 Depth=1
	s_or_b32 exec_lo, exec_lo, s0
	v_mul_lo_u32 v4, v29, s24
	v_mul_lo_u32 v9, v28, s25
	s_load_dwordx2 s[0:1], s[6:7], 0x0
	v_mad_u64_u32 v[7:8], null, v28, s24, 0
	s_load_dwordx2 s[24:25], s[2:3], 0x0
	s_add_u32 s22, s22, 1
	s_addc_u32 s23, s23, 0
	s_add_u32 s2, s2, 8
	s_addc_u32 s3, s3, 0
	s_add_u32 s6, s6, 8
	v_add3_u32 v4, v8, v9, v4
	v_sub_co_u32 v5, vcc_lo, v5, v7
	s_addc_u32 s7, s7, 0
	s_add_u32 s20, s20, 8
	v_sub_co_ci_u32_e32 v4, vcc_lo, v6, v4, vcc_lo
	s_addc_u32 s21, s21, 0
	s_waitcnt lgkmcnt(0)
	v_mul_lo_u32 v6, s0, v4
	v_mul_lo_u32 v7, s1, v5
	v_mad_u64_u32 v[1:2], null, s0, v5, v[1:2]
	v_mul_lo_u32 v4, s24, v4
	v_mul_lo_u32 v8, s25, v5
	v_mad_u64_u32 v[26:27], null, s24, v5, v[26:27]
	v_cmp_ge_u64_e64 s0, s[22:23], s[14:15]
	v_add3_u32 v2, v7, v2, v6
	v_add3_u32 v27, v8, v27, v4
	s_and_b32 vcc_lo, exec_lo, s0
	s_cbranch_vccnz .LBB0_9
; %bb.7:                                ;   in Loop: Header=BB0_2 Depth=1
	v_mov_b32_e32 v5, v28
	v_mov_b32_e32 v6, v29
	s_branch .LBB0_2
.LBB0_8:
	v_mov_b32_e32 v27, v2
	v_mov_b32_e32 v29, v6
	;; [unrolled: 1-line block ×4, first 2 shown]
.LBB0_9:
	s_load_dwordx2 s[0:1], s[4:5], 0x28
	v_mul_hi_u32 v3, 0x2d82d83, v0
	s_lshl_b64 s[4:5], s[14:15], 3
                                        ; implicit-def: $vgpr24
	s_add_u32 s2, s18, s4
	s_addc_u32 s3, s19, s5
	s_waitcnt lgkmcnt(0)
	v_cmp_gt_u64_e32 vcc_lo, s[0:1], v[28:29]
	v_cmp_le_u64_e64 s0, s[0:1], v[28:29]
	s_and_saveexec_b32 s1, s0
	s_xor_b32 s0, exec_lo, s1
; %bb.10:
	v_mul_u32_u24_e32 v1, 0x5a, v3
                                        ; implicit-def: $vgpr3
	v_sub_nc_u32_e32 v24, v0, v1
                                        ; implicit-def: $vgpr0
                                        ; implicit-def: $vgpr1_vgpr2
; %bb.11:
	s_or_saveexec_b32 s1, s0
	s_load_dwordx2 s[2:3], s[2:3], 0x0
	s_xor_b32 exec_lo, exec_lo, s1
	s_cbranch_execz .LBB0_15
; %bb.12:
	s_add_u32 s4, s16, s4
	s_addc_u32 s5, s17, s5
	v_lshlrev_b64 v[1:2], 2, v[1:2]
	s_load_dwordx2 s[4:5], s[4:5], 0x0
	s_waitcnt lgkmcnt(0)
	v_mul_lo_u32 v6, s5, v28
	v_mul_lo_u32 v7, s4, v29
	v_mad_u64_u32 v[4:5], null, s4, v28, 0
	v_add3_u32 v5, v5, v7, v6
	v_mul_u32_u24_e32 v6, 0x5a, v3
	v_lshlrev_b64 v[3:4], 2, v[4:5]
	v_sub_nc_u32_e32 v24, v0, v6
	v_lshlrev_b32_e32 v12, 2, v24
	v_add_co_u32 v0, s0, s8, v3
	v_add_co_ci_u32_e64 v3, s0, s9, v4, s0
	v_add_co_u32 v0, s0, v0, v1
	v_add_co_ci_u32_e64 v1, s0, v3, v2, s0
	;; [unrolled: 2-line block ×7, first 2 shown]
	s_clause 0x17
	global_load_dword v13, v[2:3], off
	global_load_dword v14, v[2:3], off offset:360
	global_load_dword v15, v[2:3], off offset:720
	global_load_dword v16, v[2:3], off offset:1080
	global_load_dword v17, v[2:3], off offset:1440
	global_load_dword v18, v[2:3], off offset:1800
	global_load_dword v19, v[4:5], off offset:112
	global_load_dword v20, v[4:5], off offset:472
	global_load_dword v21, v[4:5], off offset:832
	global_load_dword v22, v[4:5], off offset:1192
	global_load_dword v23, v[4:5], off offset:1552
	global_load_dword v4, v[4:5], off offset:1912
	global_load_dword v5, v[6:7], off offset:224
	global_load_dword v25, v[6:7], off offset:584
	global_load_dword v30, v[6:7], off offset:944
	global_load_dword v31, v[6:7], off offset:1304
	global_load_dword v32, v[6:7], off offset:1664
	global_load_dword v6, v[6:7], off offset:2024
	global_load_dword v7, v[8:9], off offset:336
	global_load_dword v33, v[8:9], off offset:696
	global_load_dword v34, v[8:9], off offset:1056
	global_load_dword v35, v[8:9], off offset:1416
	global_load_dword v8, v[8:9], off offset:1776
	global_load_dword v9, v[10:11], off offset:88
	v_add_co_u32 v2, s0, 0x2800, v2
	v_add_co_ci_u32_e64 v3, s0, 0, v3, s0
	s_clause 0x5
	global_load_dword v36, v[10:11], off offset:448
	global_load_dword v37, v[10:11], off offset:808
	;; [unrolled: 1-line block ×6, first 2 shown]
	v_add_nc_u32_e32 v3, 0, v12
	v_cmp_eq_u32_e64 s0, 0x59, v24
	v_add_nc_u32_e32 v11, 0x200, v3
	v_add_nc_u32_e32 v12, 0x400, v3
	;; [unrolled: 1-line block ×14, first 2 shown]
	s_waitcnt vmcnt(28)
	ds_write2_b32 v3, v13, v14 offset1:90
	s_waitcnt vmcnt(26)
	ds_write2_b32 v11, v15, v16 offset0:52 offset1:142
	s_waitcnt vmcnt(24)
	ds_write2_b32 v12, v17, v18 offset0:104 offset1:194
	;; [unrolled: 2-line block ×14, first 2 shown]
	s_and_saveexec_b32 s4, s0
	s_cbranch_execz .LBB0_14
; %bb.13:
	v_add_co_u32 v0, s0, 0x2800, v0
	v_add_co_ci_u32_e64 v1, s0, 0, v1, s0
	v_mov_b32_e32 v24, 0x59
	global_load_dword v0, v[0:1], off offset:560
	v_mov_b32_e32 v1, 0
	s_waitcnt vmcnt(0)
	ds_write_b32 v1, v0 offset:10800
.LBB0_14:
	s_or_b32 exec_lo, exec_lo, s4
.LBB0_15:
	s_or_b32 exec_lo, exec_lo, s1
	v_lshlrev_b32_e32 v0, 2, v24
	s_waitcnt lgkmcnt(0)
	s_barrier
	buffer_gl0_inv
	s_add_u32 s1, s12, 0x2a24
	v_add_nc_u32_e32 v34, 0, v0
	v_sub_nc_u32_e32 v2, 0, v0
	s_addc_u32 s4, s13, 0
	s_mov_b32 s5, exec_lo
                                        ; implicit-def: $vgpr0_vgpr1
	ds_read_u16 v5, v34
	ds_read_u16 v6, v2 offset:10800
	s_waitcnt lgkmcnt(0)
	v_add_f16_e32 v4, v6, v5
	v_sub_f16_e32 v3, v5, v6
	v_cmpx_ne_u32_e32 0, v24
	s_xor_b32 s5, exec_lo, s5
	s_cbranch_execz .LBB0_17
; %bb.16:
	v_mov_b32_e32 v25, 0
	v_add_f16_e32 v4, v6, v5
	v_sub_f16_e32 v5, v5, v6
	v_lshlrev_b64 v[0:1], 2, v[24:25]
	v_add_co_u32 v0, s0, s1, v0
	v_add_co_ci_u32_e64 v1, s0, s4, v1, s0
	global_load_dword v0, v[0:1], off
	ds_read_u16 v1, v2 offset:10802
	ds_read_u16 v3, v34 offset:2
	s_waitcnt lgkmcnt(0)
	v_add_f16_e32 v6, v1, v3
	v_sub_f16_e32 v1, v3, v1
	s_waitcnt vmcnt(0)
	v_lshrrev_b32_e32 v7, 16, v0
	v_fma_f16 v8, -v5, v7, v4
	v_fma_f16 v9, v6, v7, -v1
	v_fma_f16 v3, v6, v7, v1
	v_fma_f16 v4, v5, v7, v4
	v_fmac_f16_e32 v8, v0, v6
	v_fmac_f16_e32 v9, v5, v0
	;; [unrolled: 1-line block ×3, first 2 shown]
	v_fma_f16 v4, -v0, v6, v4
	v_mov_b32_e32 v0, v24
	v_mov_b32_e32 v1, v25
	v_pack_b32_f16 v5, v8, v9
	ds_write_b32 v2, v5 offset:10800
.LBB0_17:
	s_andn2_saveexec_b32 s0, s5
	s_cbranch_execz .LBB0_19
; %bb.18:
	v_mov_b32_e32 v5, 0
	ds_read_b32 v0, v5 offset:5400
	s_waitcnt lgkmcnt(0)
	v_pk_mul_f16 v6, 0xc0004000, v0
	v_mov_b32_e32 v0, 0
	v_mov_b32_e32 v1, 0
	ds_write_b32 v5, v6 offset:5400
.LBB0_19:
	s_or_b32 exec_lo, exec_lo, s0
	v_lshlrev_b64 v[0:1], 2, v[0:1]
	v_perm_b32 v3, v3, v4, 0x5040100
	v_and_b32_e32 v30, 0xff, v24
	v_add_nc_u32_e32 v48, 0x5a, v24
	v_add_nc_u32_e32 v49, 0xb4, v24
	;; [unrolled: 1-line block ×3, first 2 shown]
	v_add_co_u32 v0, s0, s1, v0
	v_add_co_ci_u32_e64 v1, s0, s4, v1, s0
	v_and_b32_e32 v50, 0xff, v48
	v_add_co_u32 v5, s0, 0x800, v0
	s_clause 0x4
	global_load_dword v7, v[0:1], off offset:360
	global_load_dword v8, v[0:1], off offset:720
	;; [unrolled: 1-line block ×5, first 2 shown]
	v_add_co_ci_u32_e64 v6, s0, 0, v1, s0
	v_add_co_u32 v0, s0, 0x1000, v0
	s_clause 0x1
	global_load_dword v12, v[5:6], off offset:112
	global_load_dword v13, v[5:6], off offset:472
	ds_write_b32 v34, v3
	ds_read_b32 v3, v34 offset:360
	ds_read_b32 v4, v2 offset:10440
	global_load_dword v14, v[5:6], off offset:832
	v_add_co_ci_u32_e64 v1, s0, 0, v1, s0
	v_add_nc_u32_e32 v45, 0x200, v34
	v_add_nc_u32_e32 v47, 0x1c00, v34
	;; [unrolled: 1-line block ×13, first 2 shown]
	v_mov_b32_e32 v51, 9
	s_waitcnt lgkmcnt(0)
	v_add_f16_e32 v15, v3, v4
	v_add_f16_sdwa v16, v4, v3 dst_sel:DWORD dst_unused:UNUSED_PAD src0_sel:WORD_1 src1_sel:WORD_1
	v_sub_f16_e32 v17, v3, v4
	v_sub_f16_sdwa v3, v3, v4 dst_sel:DWORD dst_unused:UNUSED_PAD src0_sel:WORD_1 src1_sel:WORD_1
	s_waitcnt vmcnt(7)
	v_lshrrev_b32_e32 v18, 16, v7
	v_fma_f16 v4, v17, v18, v15
	v_fma_f16 v19, v16, v18, v3
	v_fma_f16 v15, -v17, v18, v15
	v_fma_f16 v3, v16, v18, -v3
	v_fma_f16 v4, -v7, v16, v4
	v_fmac_f16_e32 v19, v17, v7
	v_fmac_f16_e32 v15, v7, v16
	;; [unrolled: 1-line block ×3, first 2 shown]
	s_waitcnt vmcnt(6)
	v_lshrrev_b32_e32 v7, 16, v8
	v_pack_b32_f16 v4, v4, v19
	v_pack_b32_f16 v3, v15, v3
	ds_write_b32 v34, v4 offset:360
	ds_write_b32 v2, v3 offset:10440
	ds_read_b32 v3, v34 offset:720
	ds_read_b32 v4, v2 offset:10080
	s_waitcnt lgkmcnt(0)
	v_add_f16_e32 v15, v3, v4
	v_add_f16_sdwa v16, v4, v3 dst_sel:DWORD dst_unused:UNUSED_PAD src0_sel:WORD_1 src1_sel:WORD_1
	v_sub_f16_e32 v17, v3, v4
	v_sub_f16_sdwa v3, v3, v4 dst_sel:DWORD dst_unused:UNUSED_PAD src0_sel:WORD_1 src1_sel:WORD_1
	global_load_dword v4, v[5:6], off offset:1192
	v_fma_f16 v18, v17, v7, v15
	v_fma_f16 v19, v16, v7, v3
	v_fma_f16 v15, -v17, v7, v15
	v_fma_f16 v3, v16, v7, -v3
	v_fma_f16 v7, -v8, v16, v18
	v_fmac_f16_e32 v19, v17, v8
	v_fmac_f16_e32 v15, v8, v16
	v_fmac_f16_e32 v3, v17, v8
	s_waitcnt vmcnt(6)
	v_lshrrev_b32_e32 v8, 16, v9
	v_pack_b32_f16 v7, v7, v19
	v_pack_b32_f16 v3, v15, v3
	ds_write_b32 v34, v7 offset:720
	ds_write_b32 v2, v3 offset:10080
	ds_read_b32 v3, v34 offset:1080
	ds_read_b32 v7, v2 offset:9720
	s_waitcnt lgkmcnt(0)
	v_add_f16_e32 v15, v3, v7
	v_add_f16_sdwa v16, v7, v3 dst_sel:DWORD dst_unused:UNUSED_PAD src0_sel:WORD_1 src1_sel:WORD_1
	v_sub_f16_e32 v17, v3, v7
	v_sub_f16_sdwa v3, v3, v7 dst_sel:DWORD dst_unused:UNUSED_PAD src0_sel:WORD_1 src1_sel:WORD_1
	global_load_dword v7, v[5:6], off offset:1552
	v_fma_f16 v18, v17, v8, v15
	v_fma_f16 v19, v16, v8, v3
	v_fma_f16 v15, -v17, v8, v15
	v_fma_f16 v3, v16, v8, -v3
	v_fma_f16 v8, -v9, v16, v18
	v_fmac_f16_e32 v19, v17, v9
	v_fmac_f16_e32 v15, v9, v16
	;; [unrolled: 1-line block ×3, first 2 shown]
	s_waitcnt vmcnt(6)
	v_lshrrev_b32_e32 v9, 16, v10
	v_pack_b32_f16 v8, v8, v19
	v_pack_b32_f16 v3, v15, v3
	ds_write_b32 v34, v8 offset:1080
	ds_write_b32 v2, v3 offset:9720
	ds_read_b32 v3, v34 offset:1440
	ds_read_b32 v8, v2 offset:9360
	global_load_dword v5, v[5:6], off offset:1912
	s_waitcnt lgkmcnt(0)
	v_add_f16_e32 v15, v3, v8
	v_add_f16_sdwa v16, v8, v3 dst_sel:DWORD dst_unused:UNUSED_PAD src0_sel:WORD_1 src1_sel:WORD_1
	v_sub_f16_e32 v17, v3, v8
	v_sub_f16_sdwa v3, v3, v8 dst_sel:DWORD dst_unused:UNUSED_PAD src0_sel:WORD_1 src1_sel:WORD_1
	v_fma_f16 v6, v17, v9, v15
	v_fma_f16 v8, v16, v9, v3
	v_fma_f16 v15, -v17, v9, v15
	v_fma_f16 v3, v16, v9, -v3
	v_fma_f16 v6, -v10, v16, v6
	v_fmac_f16_e32 v8, v17, v10
	v_fmac_f16_e32 v15, v10, v16
	;; [unrolled: 1-line block ×3, first 2 shown]
	v_pack_b32_f16 v6, v6, v8
	s_waitcnt vmcnt(6)
	v_lshrrev_b32_e32 v8, 16, v11
	v_pack_b32_f16 v3, v15, v3
	ds_write_b32 v34, v6 offset:1440
	ds_write_b32 v2, v3 offset:9360
	ds_read_b32 v3, v34 offset:1800
	ds_read_b32 v6, v2 offset:9000
	s_waitcnt lgkmcnt(0)
	v_add_f16_e32 v9, v3, v6
	v_add_f16_sdwa v10, v6, v3 dst_sel:DWORD dst_unused:UNUSED_PAD src0_sel:WORD_1 src1_sel:WORD_1
	v_sub_f16_e32 v15, v3, v6
	v_sub_f16_sdwa v3, v3, v6 dst_sel:DWORD dst_unused:UNUSED_PAD src0_sel:WORD_1 src1_sel:WORD_1
	global_load_dword v6, v[0:1], off offset:224
	v_fma_f16 v16, v15, v8, v9
	v_fma_f16 v17, v10, v8, v3
	v_fma_f16 v9, -v15, v8, v9
	v_fma_f16 v3, v10, v8, -v3
	v_fma_f16 v8, -v11, v10, v16
	v_fmac_f16_e32 v17, v15, v11
	v_fmac_f16_e32 v9, v11, v10
	;; [unrolled: 1-line block ×3, first 2 shown]
	v_pack_b32_f16 v8, v8, v17
	v_pack_b32_f16 v3, v9, v3
	ds_write_b32 v34, v8 offset:1800
	ds_write_b32 v2, v3 offset:9000
	ds_read_b32 v3, v34 offset:2160
	ds_read_b32 v8, v2 offset:8640
	s_waitcnt vmcnt(6)
	v_lshrrev_b32_e32 v9, 16, v12
	s_waitcnt lgkmcnt(0)
	v_add_f16_e32 v10, v3, v8
	v_add_f16_sdwa v11, v8, v3 dst_sel:DWORD dst_unused:UNUSED_PAD src0_sel:WORD_1 src1_sel:WORD_1
	v_sub_f16_e32 v15, v3, v8
	v_sub_f16_sdwa v3, v3, v8 dst_sel:DWORD dst_unused:UNUSED_PAD src0_sel:WORD_1 src1_sel:WORD_1
	global_load_dword v8, v[0:1], off offset:584
	v_fma_f16 v16, v15, v9, v10
	v_fma_f16 v17, v11, v9, v3
	v_fma_f16 v10, -v15, v9, v10
	v_fma_f16 v3, v11, v9, -v3
	v_fma_f16 v9, -v12, v11, v16
	v_fmac_f16_e32 v17, v15, v12
	v_fmac_f16_e32 v10, v12, v11
	;; [unrolled: 1-line block ×3, first 2 shown]
	v_pack_b32_f16 v9, v9, v17
	v_pack_b32_f16 v3, v10, v3
	ds_write_b32 v34, v9 offset:2160
	ds_write_b32 v2, v3 offset:8640
	ds_read_b32 v3, v34 offset:2520
	ds_read_b32 v9, v2 offset:8280
	global_load_dword v0, v[0:1], off offset:944
	s_waitcnt vmcnt(7)
	v_lshrrev_b32_e32 v10, 16, v13
	s_waitcnt lgkmcnt(0)
	v_add_f16_e32 v11, v3, v9
	v_add_f16_sdwa v12, v9, v3 dst_sel:DWORD dst_unused:UNUSED_PAD src0_sel:WORD_1 src1_sel:WORD_1
	v_sub_f16_e32 v15, v3, v9
	v_sub_f16_sdwa v3, v3, v9 dst_sel:DWORD dst_unused:UNUSED_PAD src0_sel:WORD_1 src1_sel:WORD_1
	v_fma_f16 v1, v15, v10, v11
	v_fma_f16 v9, v12, v10, v3
	v_fma_f16 v11, -v15, v10, v11
	v_fma_f16 v3, v12, v10, -v3
	v_fma_f16 v1, -v13, v12, v1
	v_fmac_f16_e32 v9, v15, v13
	v_fmac_f16_e32 v11, v13, v12
	;; [unrolled: 1-line block ×3, first 2 shown]
	v_pack_b32_f16 v1, v1, v9
	s_waitcnt vmcnt(6)
	v_lshrrev_b32_e32 v9, 16, v14
	v_pack_b32_f16 v3, v11, v3
	ds_write_b32 v34, v1 offset:2520
	ds_write_b32 v2, v3 offset:8280
	ds_read_b32 v1, v34 offset:2880
	ds_read_b32 v3, v2 offset:7920
	s_waitcnt lgkmcnt(0)
	v_add_f16_e32 v10, v1, v3
	v_add_f16_sdwa v11, v3, v1 dst_sel:DWORD dst_unused:UNUSED_PAD src0_sel:WORD_1 src1_sel:WORD_1
	v_sub_f16_e32 v12, v1, v3
	v_sub_f16_sdwa v1, v1, v3 dst_sel:DWORD dst_unused:UNUSED_PAD src0_sel:WORD_1 src1_sel:WORD_1
	v_fma_f16 v3, v12, v9, v10
	v_fma_f16 v13, v11, v9, v1
	v_fma_f16 v10, -v12, v9, v10
	v_fma_f16 v1, v11, v9, -v1
	v_fma_f16 v3, -v14, v11, v3
	v_fmac_f16_e32 v13, v12, v14
	v_fmac_f16_e32 v10, v14, v11
	;; [unrolled: 1-line block ×3, first 2 shown]
	v_pack_b32_f16 v3, v3, v13
	v_pack_b32_f16 v1, v10, v1
	ds_write_b32 v34, v3 offset:2880
	ds_write_b32 v2, v1 offset:7920
	ds_read_b32 v1, v34 offset:3240
	ds_read_b32 v3, v2 offset:7560
	s_waitcnt lgkmcnt(0)
	v_add_f16_e32 v10, v1, v3
	v_add_f16_sdwa v11, v3, v1 dst_sel:DWORD dst_unused:UNUSED_PAD src0_sel:WORD_1 src1_sel:WORD_1
	v_sub_f16_e32 v12, v1, v3
	v_sub_f16_sdwa v1, v1, v3 dst_sel:DWORD dst_unused:UNUSED_PAD src0_sel:WORD_1 src1_sel:WORD_1
	s_waitcnt vmcnt(5)
	v_lshrrev_b32_e32 v9, 16, v4
	v_fma_f16 v3, v12, v9, v10
	v_fma_f16 v13, v11, v9, v1
	v_fma_f16 v10, -v12, v9, v10
	v_fma_f16 v1, v11, v9, -v1
	v_fma_f16 v3, -v4, v11, v3
	v_fmac_f16_e32 v13, v12, v4
	v_fmac_f16_e32 v10, v4, v11
	;; [unrolled: 1-line block ×3, first 2 shown]
	v_pack_b32_f16 v3, v3, v13
	v_pack_b32_f16 v1, v10, v1
	ds_write_b32 v34, v3 offset:3240
	ds_write_b32 v2, v1 offset:7560
	ds_read_b32 v1, v34 offset:3600
	ds_read_b32 v3, v2 offset:7200
	s_waitcnt lgkmcnt(0)
	v_add_f16_e32 v9, v1, v3
	v_add_f16_sdwa v10, v3, v1 dst_sel:DWORD dst_unused:UNUSED_PAD src0_sel:WORD_1 src1_sel:WORD_1
	s_waitcnt vmcnt(4)
	v_lshrrev_b32_e32 v4, 16, v7
	v_sub_f16_e32 v11, v1, v3
	v_sub_f16_sdwa v1, v1, v3 dst_sel:DWORD dst_unused:UNUSED_PAD src0_sel:WORD_1 src1_sel:WORD_1
	v_fma_f16 v3, v11, v4, v9
	v_fma_f16 v12, v10, v4, v1
	v_fma_f16 v9, -v11, v4, v9
	v_fma_f16 v1, v10, v4, -v1
	v_fma_f16 v3, -v7, v10, v3
	v_fmac_f16_e32 v12, v11, v7
	v_fmac_f16_e32 v9, v7, v10
	;; [unrolled: 1-line block ×3, first 2 shown]
	v_pack_b32_f16 v3, v3, v12
	v_pack_b32_f16 v1, v9, v1
	ds_write_b32 v34, v3 offset:3600
	ds_write_b32 v2, v1 offset:7200
	ds_read_b32 v1, v34 offset:3960
	ds_read_b32 v3, v2 offset:6840
	s_waitcnt vmcnt(3)
	v_lshrrev_b32_e32 v4, 16, v5
	s_waitcnt lgkmcnt(0)
	v_add_f16_e32 v7, v1, v3
	v_add_f16_sdwa v9, v3, v1 dst_sel:DWORD dst_unused:UNUSED_PAD src0_sel:WORD_1 src1_sel:WORD_1
	v_sub_f16_e32 v10, v1, v3
	v_sub_f16_sdwa v1, v1, v3 dst_sel:DWORD dst_unused:UNUSED_PAD src0_sel:WORD_1 src1_sel:WORD_1
	v_fma_f16 v3, v10, v4, v7
	v_fma_f16 v11, v9, v4, v1
	v_fma_f16 v7, -v10, v4, v7
	v_fma_f16 v1, v9, v4, -v1
	v_fma_f16 v3, -v5, v9, v3
	v_fmac_f16_e32 v11, v10, v5
	v_fmac_f16_e32 v7, v5, v9
	;; [unrolled: 1-line block ×3, first 2 shown]
	v_pack_b32_f16 v3, v3, v11
	v_pack_b32_f16 v1, v7, v1
	ds_write_b32 v34, v3 offset:3960
	ds_write_b32 v2, v1 offset:6840
	ds_read_b32 v1, v34 offset:4320
	ds_read_b32 v3, v2 offset:6480
	s_waitcnt lgkmcnt(0)
	v_add_f16_e32 v5, v1, v3
	s_waitcnt vmcnt(2)
	v_lshrrev_b32_e32 v4, 16, v6
	v_add_f16_sdwa v7, v3, v1 dst_sel:DWORD dst_unused:UNUSED_PAD src0_sel:WORD_1 src1_sel:WORD_1
	v_sub_f16_e32 v9, v1, v3
	v_sub_f16_sdwa v1, v1, v3 dst_sel:DWORD dst_unused:UNUSED_PAD src0_sel:WORD_1 src1_sel:WORD_1
	v_fma_f16 v3, v9, v4, v5
	v_fma_f16 v10, v7, v4, v1
	v_fma_f16 v5, -v9, v4, v5
	v_fma_f16 v1, v7, v4, -v1
	v_fma_f16 v3, -v6, v7, v3
	v_fmac_f16_e32 v10, v9, v6
	v_fmac_f16_e32 v5, v6, v7
	;; [unrolled: 1-line block ×3, first 2 shown]
	v_pack_b32_f16 v3, v3, v10
	v_pack_b32_f16 v1, v5, v1
	ds_write_b32 v34, v3 offset:4320
	ds_write_b32 v2, v1 offset:6480
	ds_read_b32 v3, v34 offset:4680
	ds_read_b32 v4, v2 offset:6120
	v_mad_u32_u24 v1, v24, 12, 0
	v_add_nc_u32_e32 v52, 0x438, v1
	v_add_nc_u32_e32 v63, 0x870, v1
	;; [unrolled: 1-line block ×9, first 2 shown]
	s_waitcnt vmcnt(1)
	v_lshrrev_b32_e32 v5, 16, v8
	s_waitcnt lgkmcnt(0)
	v_add_f16_e32 v6, v3, v4
	v_add_f16_sdwa v7, v4, v3 dst_sel:DWORD dst_unused:UNUSED_PAD src0_sel:WORD_1 src1_sel:WORD_1
	v_sub_f16_e32 v9, v3, v4
	v_sub_f16_sdwa v3, v3, v4 dst_sel:DWORD dst_unused:UNUSED_PAD src0_sel:WORD_1 src1_sel:WORD_1
	v_fma_f16 v4, v9, v5, v6
	v_fma_f16 v10, v7, v5, v3
	v_fma_f16 v6, -v9, v5, v6
	v_fma_f16 v3, v7, v5, -v3
	v_mov_b32_e32 v5, 0xaaab
	v_fma_f16 v4, -v8, v7, v4
	v_fmac_f16_e32 v10, v9, v8
	v_fmac_f16_e32 v6, v8, v7
	;; [unrolled: 1-line block ×3, first 2 shown]
	v_pack_b32_f16 v4, v4, v10
	v_pack_b32_f16 v3, v6, v3
	ds_write_b32 v34, v4 offset:4680
	ds_write_b32 v2, v3 offset:6120
	ds_read_b32 v3, v34 offset:5040
	ds_read_b32 v4, v2 offset:5760
	v_mul_lo_u16 v6, 0xab, v30
	v_mul_lo_u16 v30, 0x89, v30
	v_lshrrev_b16 v31, 9, v6
	s_waitcnt vmcnt(0)
	v_lshrrev_b32_e32 v6, 16, v0
	v_mul_lo_u16 v10, v31, 3
	v_sub_nc_u16 v33, v24, v10
	s_waitcnt lgkmcnt(0)
	v_add_f16_e32 v7, v3, v4
	v_add_f16_sdwa v8, v4, v3 dst_sel:DWORD dst_unused:UNUSED_PAD src0_sel:WORD_1 src1_sel:WORD_1
	v_sub_f16_e32 v9, v3, v4
	v_sub_f16_sdwa v3, v3, v4 dst_sel:DWORD dst_unused:UNUSED_PAD src0_sel:WORD_1 src1_sel:WORD_1
	v_mul_lo_u16 v4, 0xab, v50
	v_fma_f16 v11, v9, v6, v7
	v_fma_f16 v12, v8, v6, v3
	v_fma_f16 v7, -v9, v6, v7
	v_fma_f16 v3, v8, v6, -v3
	v_lshrrev_b16 v53, 9, v4
	v_fma_f16 v4, -v0, v8, v11
	v_fmac_f16_e32 v12, v9, v0
	v_fmac_f16_e32 v7, v0, v8
	;; [unrolled: 1-line block ×3, first 2 shown]
	v_mul_u32_u24_sdwa v0, v49, v5 dst_sel:DWORD dst_unused:UNUSED_PAD src0_sel:WORD_0 src1_sel:DWORD
	v_mul_lo_u16 v5, v53, 3
	v_pack_b32_f16 v4, v4, v12
	v_pack_b32_f16 v3, v7, v3
	ds_write_b32 v34, v4 offset:5040
	ds_write_b32 v2, v3 offset:5760
	v_sub_nc_u16 v32, v48, v5
	s_waitcnt lgkmcnt(0)
	s_barrier
	buffer_gl0_inv
	s_barrier
	buffer_gl0_inv
	ds_read2_b32 v[2:3], v46 offset0:132 offset1:222
	ds_read2_b32 v[4:5], v47 offset0:8 offset1:98
	ds_read2_b32 v[6:7], v34 offset1:90
	ds_read2_b32 v[8:9], v45 offset0:52 offset1:142
	ds_read2_b32 v[10:11], v25 offset0:56 offset1:146
	;; [unrolled: 1-line block ×12, first 2 shown]
	v_lshrrev_b32_e32 v54, 17, v0
	v_mul_u32_u24_sdwa v0, v33, v51 dst_sel:DWORD dst_unused:UNUSED_PAD src0_sel:BYTE_0 src1_sel:DWORD
	s_waitcnt lgkmcnt(0)
	s_barrier
	buffer_gl0_inv
	v_mul_lo_u16 v71, v54, 3
	v_lshlrev_b32_e32 v72, 2, v0
	v_mul_u32_u24_sdwa v0, v32, v51 dst_sel:DWORD dst_unused:UNUSED_PAD src0_sel:BYTE_0 src1_sel:DWORD
	v_pk_add_f16 v77, v8, v10
	v_pk_add_f16 v78, v10, v12
	v_pk_add_f16 v10, v10, v12 neg_lo:[0,1] neg_hi:[0,1]
	v_pk_add_f16 v79, v9, v11
	v_pk_add_f16 v80, v11, v13
	v_pk_add_f16 v11, v11, v13 neg_lo:[0,1] neg_hi:[0,1]
	v_pk_add_f16 v81, v14, v16
	v_pk_add_f16 v82, v16, v18
	;; [unrolled: 1-line block ×3, first 2 shown]
	v_pk_add_f16 v74, v3, v5 neg_lo:[0,1] neg_hi:[0,1]
	v_pk_add_f16 v3, v7, v3
	v_pk_add_f16 v75, v6, v2
	;; [unrolled: 1-line block ×3, first 2 shown]
	v_pk_add_f16 v2, v2, v4 neg_lo:[0,1] neg_hi:[0,1]
	v_pk_add_f16 v16, v16, v18 neg_lo:[0,1] neg_hi:[0,1]
	v_pk_add_f16 v83, v15, v17
	v_pk_add_f16 v84, v17, v19
	v_pk_add_f16 v17, v17, v19 neg_lo:[0,1] neg_hi:[0,1]
	v_pk_add_f16 v85, v20, v22
	v_pk_add_f16 v86, v22, v55
	;; [unrolled: 3-line block ×5, first 2 shown]
	v_pk_add_f16 v60, v60, v62 neg_lo:[0,1] neg_hi:[0,1]
	v_pk_fma_f16 v7, v73, 0.5, v7 op_sel_hi:[1,0,1] neg_lo:[1,0,0] neg_hi:[1,0,0]
	v_pk_mul_f16 v73, 0x3aee, v74 op_sel_hi:[0,1]
	v_pk_add_f16 v3, v3, v5
	v_pk_fma_f16 v5, v76, 0.5, v6 op_sel_hi:[1,0,1] neg_lo:[1,0,0] neg_hi:[1,0,0]
	v_pk_add_f16 v6, v77, v12
	v_pk_add_f16 v12, v79, v13
	v_pk_fma_f16 v8, v78, 0.5, v8 op_sel_hi:[1,0,1] neg_lo:[1,0,0] neg_hi:[1,0,0]
	v_pk_fma_f16 v9, v80, 0.5, v9 op_sel_hi:[1,0,1] neg_lo:[1,0,0] neg_hi:[1,0,0]
	v_pk_add_f16 v13, v81, v18
	v_pk_add_f16 v18, v83, v19
	v_pk_fma_f16 v14, v82, 0.5, v14 op_sel_hi:[1,0,1] neg_lo:[1,0,0] neg_hi:[1,0,0]
	v_pk_fma_f16 v15, v84, 0.5, v15 op_sel_hi:[1,0,1] neg_lo:[1,0,0] neg_hi:[1,0,0]
	v_pk_mul_f16 v2, 0x3aee, v2 op_sel_hi:[0,1]
	v_pk_fma_f16 v20, v86, 0.5, v20 op_sel_hi:[1,0,1] neg_lo:[1,0,0] neg_hi:[1,0,0]
	v_pk_fma_f16 v21, v88, 0.5, v21 op_sel_hi:[1,0,1] neg_lo:[1,0,0] neg_hi:[1,0,0]
	;; [unrolled: 1-line block ×4, first 2 shown]
	v_pk_mul_f16 v10, 0x3aee, v10 op_sel_hi:[0,1]
	v_pk_mul_f16 v11, 0x3aee, v11 op_sel_hi:[0,1]
	;; [unrolled: 1-line block ×8, first 2 shown]
	v_pk_add_f16 v19, v85, v55
	v_pk_add_f16 v55, v87, v56
	v_pk_add_f16 v56, v89, v61
	v_pk_add_f16 v61, v91, v62
	v_pk_add_f16 v62, v7, v73 op_sel:[0,1] op_sel_hi:[1,0] neg_lo:[0,1] neg_hi:[0,1]
	v_pk_add_f16 v7, v7, v73 op_sel:[0,1] op_sel_hi:[1,0]
	v_pk_add_f16 v73, v5, v2 op_sel:[0,1] op_sel_hi:[1,0] neg_lo:[0,1] neg_hi:[0,1]
	v_pk_add_f16 v2, v5, v2 op_sel:[0,1] op_sel_hi:[1,0]
	;; [unrolled: 2-line block ×9, first 2 shown]
	ds_write_b32 v1, v18 offset:5400
	v_pk_add_f16 v18, v58, v60 op_sel:[0,1] op_sel_hi:[1,0] neg_lo:[0,1] neg_hi:[0,1]
	v_pk_add_f16 v58, v58, v60 op_sel:[0,1] op_sel_hi:[1,0]
	v_bfi_b32 v59, 0xffff, v62, v7
	v_bfi_b32 v7, 0xffff, v7, v62
	;; [unrolled: 1-line block ×18, first 2 shown]
	v_sub_nc_u16 v58, v49, v71
	v_pk_add_f16 v4, v75, v4
	v_bfi_b32 v60, 0xffff, v73, v2
	v_bfi_b32 v2, 0xffff, v2, v73
	ds_write2_b32 v52, v3, v59 offset1:1
	ds_write2_b32 v1, v4, v60 offset1:1
	ds_write_b32 v1, v2 offset:8
	ds_write_b32 v1, v7 offset:1088
	ds_write2_b32 v63, v6, v62 offset1:1
	ds_write_b32 v1, v5 offset:2168
	ds_write2_b32 v64, v12, v8 offset1:1
	;; [unrolled: 2-line block ×8, first 2 shown]
	s_waitcnt lgkmcnt(0)
	s_barrier
	buffer_gl0_inv
	global_load_dwordx4 v[12:15], v72, s[12:13]
	v_lshlrev_b32_e32 v52, 2, v0
	v_mul_u32_u24_sdwa v0, v58, v51 dst_sel:DWORD dst_unused:UNUSED_PAD src0_sel:WORD_0 src1_sel:DWORD
	v_lshrrev_b16 v60, 12, v30
	v_mul_lo_u16 v30, 0x89, v50
	v_mov_b32_e32 v61, 0x78
	global_load_dwordx4 v[8:11], v52, s[12:13]
	v_lshlrev_b32_e32 v57, 2, v0
	s_clause 0x6
	global_load_dwordx4 v[4:7], v57, s[12:13]
	global_load_dwordx4 v[0:3], v72, s[12:13] offset:16
	global_load_dwordx4 v[20:23], v52, s[12:13] offset:16
	;; [unrolled: 1-line block ×3, first 2 shown]
	global_load_dword v56, v72, s[12:13] offset:32
	global_load_dword v55, v52, s[12:13] offset:32
	;; [unrolled: 1-line block ×3, first 2 shown]
	v_mov_b32_e32 v50, 2
	v_lshrrev_b16 v59, 12, v30
	v_mul_u32_u24_sdwa v63, v31, v61 dst_sel:DWORD dst_unused:UNUSED_PAD src0_sel:WORD_0 src1_sel:DWORD
	ds_read2_b32 v[30:31], v45 offset0:52 offset1:142
	ds_read2_b32 v[68:69], v41 offset0:28 offset1:118
	;; [unrolled: 1-line block ×6, first 2 shown]
	v_mul_u32_u24_sdwa v65, v53, v61 dst_sel:DWORD dst_unused:UNUSED_PAD src0_sel:WORD_0 src1_sel:DWORD
	v_lshlrev_b32_sdwa v33, v50, v33 dst_sel:DWORD dst_unused:UNUSED_PAD src0_sel:DWORD src1_sel:BYTE_0
	v_lshlrev_b32_sdwa v32, v50, v32 dst_sel:DWORD dst_unused:UNUSED_PAD src0_sel:DWORD src1_sel:BYTE_0
	v_lshlrev_b32_sdwa v53, v50, v58 dst_sel:DWORD dst_unused:UNUSED_PAD src0_sel:DWORD src1_sel:WORD_0
	v_mul_lo_u16 v62, v60, 30
	v_mul_u32_u24_e32 v64, 0x78, v54
	v_add3_u32 v61, 0, v63, v33
	v_add3_u32 v58, 0, v65, v32
	ds_read2_b32 v[78:79], v36 offset0:108 offset1:198
	ds_read2_b32 v[80:81], v43 offset0:84 offset1:174
	;; [unrolled: 1-line block ×8, first 2 shown]
	ds_read2_b32 v[32:33], v34 offset1:90
	v_sub_nc_u16 v54, v24, v62
	v_add3_u32 v53, 0, v64, v53
	v_mul_lo_u16 v94, v59, 30
	v_mov_b32_e32 v52, 0x8889
	s_waitcnt vmcnt(0) lgkmcnt(0)
	v_mul_u32_u24_sdwa v95, v54, v51 dst_sel:DWORD dst_unused:UNUSED_PAD src0_sel:BYTE_0 src1_sel:DWORD
	v_lshrrev_b32_e32 v96, 16, v31
	v_lshrrev_b32_e32 v97, 16, v68
	;; [unrolled: 1-line block ×30, first 2 shown]
	v_mul_u32_u24_sdwa v52, v49, v52 dst_sel:DWORD dst_unused:UNUSED_PAD src0_sel:WORD_0 src1_sel:DWORD
	s_barrier
	buffer_gl0_inv
	v_lshrrev_b32_e32 v52, 20, v52
	v_mul_f16_sdwa v123, v12, v31 dst_sel:DWORD dst_unused:UNUSED_PAD src0_sel:WORD_1 src1_sel:DWORD
	v_mul_f16_sdwa v65, v12, v96 dst_sel:DWORD dst_unused:UNUSED_PAD src0_sel:WORD_1 src1_sel:DWORD
	v_mul_f16_sdwa v125, v97, v13 dst_sel:DWORD dst_unused:UNUSED_PAD src0_sel:DWORD src1_sel:WORD_1
	v_mul_f16_sdwa v127, v72, v15 dst_sel:DWORD dst_unused:UNUSED_PAD src0_sel:DWORD src1_sel:WORD_1
	;; [unrolled: 1-line block ×17, first 2 shown]
	v_fma_f16 v96, v12, v96, -v123
	v_mul_f16_sdwa v123, v107, v7 dst_sel:DWORD dst_unused:UNUSED_PAD src0_sel:DWORD src1_sel:WORD_1
	v_mul_f16_sdwa v124, v68, v13 dst_sel:DWORD dst_unused:UNUSED_PAD src0_sel:DWORD src1_sel:WORD_1
	;; [unrolled: 1-line block ×5, first 2 shown]
	v_fma_f16 v99, v99, v15, -v127
	v_mul_f16_sdwa v127, v80, v1 dst_sel:DWORD dst_unused:UNUSED_PAD src0_sel:DWORD src1_sel:WORD_1
	v_fmac_f16_e32 v65, v12, v31
	v_fmac_f16_e32 v125, v68, v13
	;; [unrolled: 1-line block ×4, first 2 shown]
	v_mul_f16_sdwa v12, v109, v1 dst_sel:DWORD dst_unused:UNUSED_PAD src0_sel:DWORD src1_sel:WORD_1
	v_mul_f16_sdwa v15, v84, v3 dst_sel:DWORD dst_unused:UNUSED_PAD src0_sel:DWORD src1_sel:WORD_1
	v_fmac_f16_e32 v130, v69, v9
	v_mul_f16_sdwa v68, v111, v3 dst_sel:DWORD dst_unused:UNUSED_PAD src0_sel:DWORD src1_sel:WORD_1
	v_mul_f16_sdwa v69, v112, v21 dst_sel:DWORD dst_unused:UNUSED_PAD src0_sel:DWORD src1_sel:WORD_1
	v_fmac_f16_e32 v131, v73, v11
	v_mul_f16_sdwa v31, v81, v21 dst_sel:DWORD dst_unused:UNUSED_PAD src0_sel:DWORD src1_sel:WORD_1
	v_mul_f16_sdwa v71, v113, v23 dst_sel:DWORD dst_unused:UNUSED_PAD src0_sel:DWORD src1_sel:WORD_1
	v_fma_f16 v9, v100, v9, -v132
	v_fma_f16 v73, v102, v8, -v134
	v_mul_f16_sdwa v100, v86, v20 dst_sel:DWORD dst_unused:UNUSED_PAD src0_sel:DWORD src1_sel:WORD_1
	v_fma_f16 v102, v103, v10, -v135
	v_mul_f16_sdwa v103, v114, v20 dst_sel:DWORD dst_unused:UNUSED_PAD src0_sel:DWORD src1_sel:WORD_1
	;; [unrolled: 2-line block ×3, first 2 shown]
	v_fmac_f16_e32 v67, v74, v8
	v_fmac_f16_e32 v136, v76, v10
	v_mul_f16_sdwa v8, v115, v22 dst_sel:DWORD dst_unused:UNUSED_PAD src0_sel:DWORD src1_sel:WORD_1
	v_mul_f16_sdwa v10, v116, v16 dst_sel:DWORD dst_unused:UNUSED_PAD src0_sel:DWORD src1_sel:WORD_1
	;; [unrolled: 1-line block ×5, first 2 shown]
	v_fmac_f16_e32 v138, v70, v5
	v_mul_f16_sdwa v70, v89, v18 dst_sel:DWORD dst_unused:UNUSED_PAD src0_sel:DWORD src1_sel:WORD_1
	v_fmac_f16_e32 v140, v77, v6
	v_mul_f16_sdwa v77, v119, v19 dst_sel:DWORD dst_unused:UNUSED_PAD src0_sel:DWORD src1_sel:WORD_1
	v_fma_f16 v5, v105, v5, -v139
	v_mul_f16_sdwa v105, v92, v55 dst_sel:DWORD dst_unused:UNUSED_PAD src0_sel:DWORD src1_sel:WORD_1
	v_fma_f16 v6, v106, v6, -v141
	;; [unrolled: 2-line block ×3, first 2 shown]
	v_mul_f16_sdwa v135, v122, v57 dst_sel:DWORD dst_unused:UNUSED_PAD src0_sel:DWORD src1_sel:WORD_1
	v_fmac_f16_e32 v123, v78, v7
	v_mul_f16_sdwa v7, v93, v57 dst_sel:DWORD dst_unused:UNUSED_PAD src0_sel:DWORD src1_sel:WORD_1
	v_fma_f16 v97, v97, v13, -v124
	v_mul_f16_sdwa v124, v108, v0 dst_sel:DWORD dst_unused:UNUSED_PAD src0_sel:DWORD src1_sel:WORD_1
	v_fma_f16 v98, v98, v14, -v126
	v_mul_f16_sdwa v126, v79, v0 dst_sel:DWORD dst_unused:UNUSED_PAD src0_sel:DWORD src1_sel:WORD_1
	v_mul_f16_sdwa v13, v83, v2 dst_sel:DWORD dst_unused:UNUSED_PAD src0_sel:DWORD src1_sel:WORD_1
	v_mul_f16_sdwa v14, v110, v2 dst_sel:DWORD dst_unused:UNUSED_PAD src0_sel:DWORD src1_sel:WORD_1
	v_mul_f16_sdwa v72, v85, v23 dst_sel:DWORD dst_unused:UNUSED_PAD src0_sel:DWORD src1_sel:WORD_1
	v_fmac_f16_e32 v66, v75, v4
	v_mul_f16_sdwa v133, v90, v19 dst_sel:DWORD dst_unused:UNUSED_PAD src0_sel:DWORD src1_sel:WORD_1
	v_mul_f16_sdwa v134, v120, v56 dst_sel:DWORD dst_unused:UNUSED_PAD src0_sel:DWORD src1_sel:WORD_1
	v_fma_f16 v4, v104, v4, -v137
	v_mul_f16_sdwa v104, v91, v56 dst_sel:DWORD dst_unused:UNUSED_PAD src0_sel:DWORD src1_sel:WORD_1
	v_fma_f16 v78, v109, v1, -v127
	v_fma_f16 v15, v111, v3, -v15
	v_fmac_f16_e32 v12, v80, v1
	v_fmac_f16_e32 v68, v84, v3
	;; [unrolled: 1-line block ×4, first 2 shown]
	v_fma_f16 v1, v112, v21, -v31
	v_fma_f16 v3, v114, v20, -v100
	;; [unrolled: 1-line block ×3, first 2 shown]
	v_fmac_f16_e32 v103, v86, v20
	v_fmac_f16_e32 v8, v88, v22
	;; [unrolled: 1-line block ×5, first 2 shown]
	v_fma_f16 v16, v116, v16, -v74
	v_fma_f16 v18, v118, v18, -v70
	v_fmac_f16_e32 v77, v90, v19
	v_fma_f16 v22, v121, v55, -v105
	v_fmac_f16_e32 v106, v92, v55
	v_fmac_f16_e32 v135, v93, v57
	v_fma_f16 v7, v122, v57, -v7
	v_mul_f16_sdwa v75, v82, v17 dst_sel:DWORD dst_unused:UNUSED_PAD src0_sel:DWORD src1_sel:WORD_1
	v_fmac_f16_e32 v124, v79, v0
	v_fma_f16 v0, v108, v0, -v126
	v_fma_f16 v13, v110, v2, -v13
	v_fmac_f16_e32 v14, v83, v2
	v_fma_f16 v2, v113, v23, -v72
	v_fma_f16 v20, v119, v19, -v133
	v_fmac_f16_e32 v134, v91, v56
	v_fma_f16 v19, v120, v56, -v104
	v_add_f16_e32 v23, v123, v76
	v_add_f16_e32 v31, v138, v77
	v_sub_f16_e32 v55, v123, v138
	v_sub_f16_e32 v57, v76, v77
	v_add_f16_e32 v70, v10, v132
	v_add_f16_e32 v72, v140, v135
	;; [unrolled: 1-line block ×4, first 2 shown]
	v_sub_f16_e32 v83, v16, v6
	v_sub_f16_e32 v84, v18, v7
	v_add_f16_e32 v85, v131, v69
	v_add_f16_e32 v86, v130, v71
	v_sub_f16_e32 v88, v131, v130
	v_sub_f16_e32 v89, v69, v71
	v_add_f16_e32 v90, v103, v8
	v_add_f16_e32 v91, v136, v106
	v_sub_f16_e32 v93, v103, v136
	v_sub_f16_e32 v100, v8, v106
	;; [unrolled: 1-line block ×4, first 2 shown]
	v_fma_f16 v17, v117, v17, -v75
	v_add_f16_e32 v56, v30, v138
	v_add_f16_e32 v74, v66, v140
	v_sub_f16_e32 v75, v10, v140
	v_sub_f16_e32 v79, v132, v135
	v_add_f16_e32 v82, v4, v6
	v_add_f16_e32 v87, v33, v130
	v_add_f16_e32 v92, v67, v136
	v_sub_f16_e32 v110, v125, v129
	v_sub_f16_e32 v111, v68, v12
	;; [unrolled: 1-line block ×6, first 2 shown]
	v_add_f16_e32 v116, v99, v78
	v_add_f16_e32 v117, v97, v15
	v_sub_f16_e32 v119, v99, v97
	v_sub_f16_e32 v120, v78, v15
	;; [unrolled: 1-line block ×4, first 2 shown]
	v_add_f16_e32 v126, v124, v14
	v_add_f16_e32 v127, v128, v134
	v_sub_f16_e32 v137, v124, v128
	v_sub_f16_e32 v139, v14, v134
	;; [unrolled: 1-line block ×3, first 2 shown]
	v_fma_f16 v23, -0.5, v23, v30
	v_fmac_f16_e32 v30, -0.5, v31
	v_sub_f16_e32 v31, v19, v13
	v_add_f16_e32 v57, v55, v57
	v_add_f16_e32 v55, v0, v13
	v_fma_f16 v70, -0.5, v70, v66
	v_fmac_f16_e32 v66, -0.5, v72
	v_add_f16_e32 v72, v98, v19
	v_fma_f16 v80, -0.5, v80, v4
	v_fmac_f16_e32 v4, -0.5, v81
	v_sub_f16_e32 v81, v0, v98
	v_add_f16_e32 v83, v83, v84
	v_sub_f16_e32 v84, v13, v19
	v_fma_f16 v85, -0.5, v85, v33
	v_fmac_f16_e32 v33, -0.5, v86
	v_sub_f16_e32 v86, v130, v131
	v_add_f16_e32 v88, v88, v89
	v_sub_f16_e32 v89, v71, v69
	;; [unrolled: 5-line block ×3, first 2 shown]
	v_add_f16_e32 v108, v108, v109
	v_add_f16_e32 v109, v11, v1
	;; [unrolled: 1-line block ×9, first 2 shown]
	v_sub_f16_e32 v111, v11, v9
	v_add_f16_e32 v112, v112, v113
	v_add_f16_e32 v113, v9, v2
	;; [unrolled: 1-line block ×3, first 2 shown]
	v_sub_f16_e32 v115, v1, v2
	v_fma_f16 v116, -0.5, v116, v64
	v_fmac_f16_e32 v64, -0.5, v117
	v_sub_f16_e32 v117, v136, v103
	v_add_f16_e32 v119, v119, v120
	v_sub_f16_e32 v120, v106, v8
	v_add_f16_e32 v121, v121, v122
	v_sub_f16_e32 v122, v102, v3
	v_fma_f16 v126, -0.5, v126, v65
	v_fmac_f16_e32 v65, -0.5, v127
	v_sub_f16_e32 v127, v22, v21
	v_add_f16_e32 v137, v137, v139
	v_sub_f16_e32 v139, v138, v123
	v_add_f16_e32 v141, v141, v31
	;; [unrolled: 7-line block ×3, first 2 shown]
	v_add_f16_e32 v86, v107, v17
	v_add_f16_e32 v89, v91, v100
	v_fma_f16 v100, -0.5, v109, v63
	v_add_f16_e32 v109, v5, v20
	v_add_f16_e32 v105, v73, v102
	v_fma_f16 v101, -0.5, v101, v73
	v_fmac_f16_e32 v73, -0.5, v104
	v_add_f16_e32 v104, v63, v9
	v_sub_f16_e32 v91, v107, v5
	v_fmac_f16_e32 v63, -0.5, v113
	v_add_f16_e32 v111, v111, v115
	v_sub_f16_e32 v113, v17, v20
	v_add_f16_e32 v115, v117, v120
	v_add_f16_e32 v117, v62, v5
	;; [unrolled: 1-line block ×3, first 2 shown]
	v_sub_f16_e32 v122, v140, v10
	v_add_f16_e32 v127, v139, v31
	v_sub_f16_e32 v31, v135, v132
	v_add_f16_e32 v81, v55, v81
	v_sub_f16_e32 v139, v6, v16
	v_fma_f16 v86, -0.5, v86, v62
	v_fmac_f16_e32 v62, -0.5, v109
	v_add_f16_e32 v55, v32, v125
	v_sub_f16_e32 v109, v7, v18
	v_add_f16_e32 v118, v118, v99
	v_add_f16_e32 v91, v91, v113
	;; [unrolled: 1-line block ×3, first 2 shown]
	v_sub_nc_u16 v31, v48, v94
	v_add_f16_e32 v94, v55, v129
	v_lshlrev_b32_e32 v55, 2, v95
	v_add_f16_e32 v95, v139, v109
	v_add_f16_e32 v109, v129, v12
	v_sub_f16_e32 v99, v99, v78
	v_add_f16_e32 v78, v118, v78
	v_add_f16_e32 v118, v125, v68
	;; [unrolled: 1-line block ×4, first 2 shown]
	v_sub_f16_e32 v125, v125, v68
	v_sub_f16_e32 v97, v97, v15
	;; [unrolled: 1-line block ×3, first 2 shown]
	v_fma_f16 v109, -0.5, v109, v32
	v_add_f16_e32 v87, v87, v131
	v_fma_f16 v32, -0.5, v118, v32
	v_sub_f16_e32 v129, v129, v12
	v_add_f16_e32 v133, v133, v124
	v_add_f16_e32 v79, v79, v0
	v_sub_f16_e32 v0, v0, v13
	v_sub_f16_e32 v11, v11, v1
	v_add_f16_e32 v92, v92, v103
	v_sub_f16_e32 v103, v103, v8
	v_add_f16_e32 v105, v105, v3
	v_add_f16_e32 v117, v117, v107
	v_sub_f16_e32 v107, v107, v17
	v_sub_f16_e32 v16, v16, v18
	v_add_f16_e32 v74, v74, v10
	v_sub_f16_e32 v10, v10, v132
	v_sub_f16_e32 v9, v9, v2
	;; [unrolled: 1-line block ×3, first 2 shown]
	v_add_f16_e32 v56, v56, v123
	v_sub_f16_e32 v128, v128, v134
	v_add_f16_e32 v1, v104, v1
	v_add_f16_e32 v18, v82, v18
	v_fmamk_f16 v82, v97, 0xbb9c, v109
	v_fmac_f16_e32 v109, 0x3b9c, v97
	v_fmamk_f16 v104, v125, 0x3b9c, v116
	v_fmac_f16_e32 v116, 0xbb9c, v125
	v_fmamk_f16 v118, v98, 0xbb9c, v126
	v_fmac_f16_e32 v126, 0x3b9c, v98
	v_sub_f16_e32 v124, v124, v14
	v_sub_f16_e32 v131, v131, v69
	v_add_f16_e32 v69, v87, v69
	v_fmamk_f16 v87, v99, 0x3b9c, v32
	v_fmac_f16_e32 v32, 0xbb9c, v99
	v_add_f16_e32 v12, v94, v12
	v_sub_f16_e32 v3, v3, v21
	v_sub_f16_e32 v5, v5, v20
	;; [unrolled: 1-line block ×6, first 2 shown]
	v_add_f16_e32 v14, v133, v14
	v_add_f16_e32 v13, v79, v13
	;; [unrolled: 1-line block ×6, first 2 shown]
	v_fmamk_f16 v76, v107, 0x3b9c, v30
	v_fmac_f16_e32 v30, 0xbb9c, v107
	v_add_f16_e32 v74, v74, v132
	v_fmamk_f16 v79, v16, 0x3b9c, v66
	v_fmac_f16_e32 v66, 0xbb9c, v16
	v_fmamk_f16 v92, v10, 0xbb9c, v4
	v_fmac_f16_e32 v4, 0x3b9c, v10
	v_fmamk_f16 v105, v129, 0xbb9c, v64
	v_fmac_f16_e32 v64, 0x3b9c, v129
	v_fmamk_f16 v117, v11, 0x3b9c, v33
	v_fmac_f16_e32 v33, 0xbb9c, v11
	v_fmamk_f16 v132, v0, 0x3b9c, v65
	v_fmac_f16_e32 v65, 0xbb9c, v0
	v_fmac_f16_e32 v82, 0xb8b4, v99
	v_fmac_f16_e32 v109, 0x38b4, v99
	v_fmamk_f16 v99, v128, 0x3b9c, v142
	v_add_f16_e32 v15, v78, v15
	v_fmamk_f16 v78, v103, 0xbb9c, v73
	v_fmac_f16_e32 v73, 0x3b9c, v103
	v_fmac_f16_e32 v104, 0x38b4, v129
	v_fmac_f16_e32 v116, 0xb8b4, v129
	v_fmamk_f16 v129, v9, 0xbb9c, v85
	v_fmac_f16_e32 v85, 0x3b9c, v9
	v_fmac_f16_e32 v118, 0xb8b4, v0
	v_fmac_f16_e32 v126, 0x38b4, v0
	;; [unrolled: 4-line block ×3, first 2 shown]
	v_fmamk_f16 v97, v124, 0xbb9c, v96
	v_fmac_f16_e32 v96, 0x3b9c, v124
	v_fmac_f16_e32 v142, 0xbb9c, v128
	v_sub_f16_e32 v130, v130, v71
	v_add_f16_e32 v12, v12, v68
	v_fmamk_f16 v68, v3, 0x3b9c, v67
	v_fmac_f16_e32 v67, 0xbb9c, v3
	v_add_f16_e32 v14, v14, v134
	v_fmac_f16_e32 v132, 0xb8b4, v98
	v_fmac_f16_e32 v65, 0x38b4, v98
	v_fmamk_f16 v98, v136, 0x3b9c, v101
	v_fmac_f16_e32 v101, 0xbb9c, v136
	v_add_f16_e32 v13, v13, v19
	v_fmamk_f16 v19, v5, 0xbb9c, v23
	v_fmac_f16_e32 v23, 0x3b9c, v5
	v_fmac_f16_e32 v99, 0x38b4, v124
	v_add_f16_e32 v69, v69, v71
	v_fmamk_f16 v71, v6, 0xbb9c, v70
	v_fmac_f16_e32 v70, 0x3b9c, v6
	v_fmac_f16_e32 v129, 0xb8b4, v11
	;; [unrolled: 1-line block ×3, first 2 shown]
	v_fmamk_f16 v11, v139, 0x3b9c, v80
	v_fmac_f16_e32 v80, 0xbb9c, v139
	v_fmac_f16_e32 v33, 0x38b4, v9
	;; [unrolled: 1-line block ×3, first 2 shown]
	v_add_f16_e32 v1, v1, v2
	v_add_f16_e32 v2, v8, v106
	v_fmac_f16_e32 v0, 0xb8b4, v3
	v_fmac_f16_e32 v90, 0x38b4, v3
	;; [unrolled: 1-line block ×6, first 2 shown]
	v_add_f16_e32 v3, v21, v22
	v_add_f16_e32 v8, v56, v77
	v_fmac_f16_e32 v76, 0xb8b4, v5
	v_add_f16_e32 v5, v17, v20
	v_add_f16_e32 v9, v74, v135
	v_fmac_f16_e32 v79, 0xb8b4, v6
	v_add_f16_e32 v6, v18, v7
	v_fmac_f16_e32 v97, 0x38b4, v128
	v_fmac_f16_e32 v96, 0xb8b4, v128
	;; [unrolled: 1-line block ×3, first 2 shown]
	v_sub_f16_e32 v138, v138, v77
	v_fmac_f16_e32 v67, 0x38b4, v102
	v_fmac_f16_e32 v98, 0x38b4, v103
	;; [unrolled: 1-line block ×10, first 2 shown]
	v_add_f16_e32 v7, v12, v14
	v_sub_f16_e32 v10, v12, v14
	v_add_f16_e32 v12, v15, v13
	v_sub_f16_e32 v13, v15, v13
	;; [unrolled: 2-line block ×6, first 2 shown]
	v_fmac_f16_e32 v97, 0x34f2, v72
	v_fmac_f16_e32 v96, 0x34f2, v72
	;; [unrolled: 1-line block ×5, first 2 shown]
	v_fmamk_f16 v125, v130, 0x3b9c, v100
	v_fmac_f16_e32 v100, 0xbb9c, v130
	v_fmamk_f16 v133, v131, 0xbb9c, v63
	v_fmac_f16_e32 v63, 0x3b9c, v131
	v_fmamk_f16 v124, v138, 0x3b9c, v86
	v_fmac_f16_e32 v86, 0xbb9c, v138
	v_fmamk_f16 v128, v123, 0xbb9c, v62
	v_fmac_f16_e32 v62, 0x3b9c, v123
	v_fmac_f16_e32 v68, 0xb8b4, v102
	v_fmac_f16_e32 v71, 0xb8b4, v16
	;; [unrolled: 1-line block ×12, first 2 shown]
	v_mul_f16_e32 v6, 0xbb9c, v4
	v_mul_f16_e32 v16, 0xbb9c, v73
	v_pack_b32_f16 v1, v2, v1
	v_pack_b32_f16 v2, v3, v9
	;; [unrolled: 1-line block ×3, first 2 shown]
	v_mul_f16_e32 v5, 0xb8b4, v99
	v_mul_f16_e32 v8, 0x3a79, v99
	v_fmac_f16_e32 v132, 0x34f2, v137
	v_fmac_f16_e32 v65, 0x34f2, v137
	v_pack_b32_f16 v7, v7, v12
	v_pack_b32_f16 v10, v10, v13
	;; [unrolled: 1-line block ×3, first 2 shown]
	v_mul_f16_e32 v9, 0xbb9c, v97
	v_mul_f16_e32 v13, 0x34f2, v97
	;; [unrolled: 1-line block ×4, first 2 shown]
	v_fmac_f16_e32 v126, 0x34f2, v121
	v_mul_f16_e32 v17, 0xb8b4, v142
	v_mul_f16_e32 v18, 0xba79, v142
	v_fmac_f16_e32 v125, 0x38b4, v131
	v_fmac_f16_e32 v100, 0xb8b4, v131
	;; [unrolled: 1-line block ×21, first 2 shown]
	v_mul_f16_e32 v20, 0xb8b4, v98
	v_mul_f16_e32 v21, 0x3a79, v98
	;; [unrolled: 1-line block ×14, first 2 shown]
	v_fmac_f16_e32 v6, 0xb4f2, v66
	v_fmac_f16_e32 v16, 0xb4f2, v67
	;; [unrolled: 1-line block ×43, first 2 shown]
	v_add_f16_e32 v0, v30, v6
	v_sub_f16_e32 v6, v30, v6
	v_add_f16_e32 v30, v33, v16
	v_sub_f16_e32 v16, v33, v16
	v_add_f16_e32 v33, v82, v5
	v_add_f16_e32 v67, v104, v8
	;; [unrolled: 1-line block ×6, first 2 shown]
	v_sub_f16_e32 v14, v32, v14
	v_add_f16_e32 v32, v109, v17
	v_sub_f16_e32 v15, v64, v15
	v_add_f16_e32 v64, v116, v18
	v_sub_f16_e32 v5, v82, v5
	v_sub_f16_e32 v9, v87, v9
	;; [unrolled: 1-line block ×6, first 2 shown]
	v_mul_lo_u16 v122, v52, 30
	v_add_f16_e32 v71, v129, v20
	v_sub_f16_e32 v20, v129, v20
	v_add_f16_e32 v79, v117, v22
	v_sub_f16_e32 v22, v117, v22
	;; [unrolled: 2-line block ×14, first 2 shown]
	v_pack_b32_f16 v33, v33, v67
	v_pack_b32_f16 v65, v65, v68
	v_pack_b32_f16 v66, v66, v70
	v_pack_b32_f16 v32, v32, v64
	v_pack_b32_f16 v5, v5, v8
	v_pack_b32_f16 v8, v9, v13
	v_mul_u32_u24_sdwa v94, v31, v51 dst_sel:DWORD dst_unused:UNUSED_PAD src0_sel:BYTE_0 src1_sel:DWORD
	v_pack_b32_f16 v9, v14, v15
	v_pack_b32_f16 v13, v17, v18
	v_pack_b32_f16 v14, v71, v81
	v_pack_b32_f16 v15, v79, v82
	v_pack_b32_f16 v17, v30, v83
	v_pack_b32_f16 v18, v80, v63
	v_pack_b32_f16 v20, v20, v21
	v_pack_b32_f16 v21, v22, v56
	v_pack_b32_f16 v16, v16, v57
	v_pack_b32_f16 v22, v69, v72
	v_pack_b32_f16 v30, v84, v77
	v_pack_b32_f16 v56, v73, v85
	v_pack_b32_f16 v0, v0, v87
	v_pack_b32_f16 v57, v76, v62
	v_pack_b32_f16 v11, v19, v11
	v_pack_b32_f16 v19, v74, v75
	v_pack_b32_f16 v4, v6, v4
	v_pack_b32_f16 v6, v23, v78
	ds_write2_b32 v61, v7, v33 offset1:3
	ds_write2_b32 v61, v65, v66 offset0:6 offset1:9
	ds_write2_b32 v61, v32, v10 offset0:12 offset1:15
	ds_write2_b32 v61, v5, v8 offset0:18 offset1:21
	ds_write2_b32 v61, v9, v13 offset0:24 offset1:27
	ds_write2_b32 v58, v12, v14 offset1:3
	ds_write2_b32 v58, v15, v17 offset0:6 offset1:9
	ds_write2_b32 v58, v18, v1 offset0:12 offset1:15
	ds_write2_b32 v58, v20, v21 offset0:18 offset1:21
	ds_write2_b32 v58, v16, v22 offset0:24 offset1:27
	;; [unrolled: 5-line block ×3, first 2 shown]
	v_sub_nc_u16 v53, v49, v122
	v_lshlrev_b32_e32 v32, 2, v94
	s_waitcnt lgkmcnt(0)
	s_barrier
	buffer_gl0_inv
	v_mul_u32_u24_sdwa v0, v53, v51 dst_sel:DWORD dst_unused:UNUSED_PAD src0_sel:WORD_0 src1_sel:DWORD
	s_clause 0x1
	global_load_dwordx4 v[12:15], v55, s[12:13] offset:108
	global_load_dwordx4 v[8:11], v32, s[12:13] offset:108
	v_lshlrev_b32_sdwa v33, v50, v54 dst_sel:DWORD dst_unused:UNUSED_PAD src0_sel:DWORD src1_sel:BYTE_0
	v_lshlrev_b32_e32 v30, 2, v0
	s_clause 0x6
	global_load_dwordx4 v[4:7], v30, s[12:13] offset:108
	global_load_dwordx4 v[0:3], v55, s[12:13] offset:124
	;; [unrolled: 1-line block ×4, first 2 shown]
	global_load_dword v55, v55, s[12:13] offset:140
	global_load_dword v51, v32, s[12:13] offset:140
	;; [unrolled: 1-line block ×3, first 2 shown]
	v_mov_b32_e32 v30, 0x4b0
	v_mul_u32_u24_sdwa v32, v60, v30 dst_sel:DWORD dst_unused:UNUSED_PAD src0_sel:WORD_0 src1_sel:DWORD
	v_mul_u32_u24_sdwa v54, v59, v30 dst_sel:DWORD dst_unused:UNUSED_PAD src0_sel:WORD_0 src1_sel:DWORD
	v_add3_u32 v61, 0, v32, v33
	v_lshlrev_b32_sdwa v32, v50, v31 dst_sel:DWORD dst_unused:UNUSED_PAD src0_sel:DWORD src1_sel:BYTE_0
	ds_read2_b32 v[30:31], v45 offset0:52 offset1:142
	ds_read2_b32 v[67:68], v25 offset0:56 offset1:146
	;; [unrolled: 1-line block ×4, first 2 shown]
	v_add_nc_u32_e32 v62, 0x200, v61
	v_add3_u32 v54, 0, v54, v32
	ds_read2_b32 v[73:74], v38 offset0:104 offset1:194
	ds_read2_b32 v[75:76], v46 offset0:132 offset1:222
	;; [unrolled: 1-line block ×9, first 2 shown]
	ds_read2_b32 v[32:33], v34 offset1:90
	ds_read2_b32 v[91:92], v44 offset0:88 offset1:178
	s_waitcnt vmcnt(0) lgkmcnt(0)
	s_barrier
	buffer_gl0_inv
	v_lshrrev_b32_e32 v102, 16, v74
	v_lshrrev_b32_e32 v100, 16, v73
	;; [unrolled: 1-line block ×30, first 2 shown]
	v_mul_f16_sdwa v121, v12, v31 dst_sel:DWORD dst_unused:UNUSED_PAD src0_sel:WORD_1 src1_sel:DWORD
	v_mul_f16_sdwa v122, v13, v69 dst_sel:DWORD dst_unused:UNUSED_PAD src0_sel:WORD_1 src1_sel:DWORD
	v_mul_f16_sdwa v125, v67, v15 dst_sel:DWORD dst_unused:UNUSED_PAD src0_sel:DWORD src1_sel:WORD_1
	v_mul_f16_sdwa v128, v98, v9 dst_sel:DWORD dst_unused:UNUSED_PAD src0_sel:DWORD src1_sel:WORD_1
	;; [unrolled: 1-line block ×5, first 2 shown]
	v_mul_f16_sdwa v66, v12, v94 dst_sel:DWORD dst_unused:UNUSED_PAD src0_sel:WORD_1 src1_sel:DWORD
	v_mul_f16_sdwa v123, v13, v96 dst_sel:DWORD dst_unused:UNUSED_PAD src0_sel:WORD_1 src1_sel:DWORD
	;; [unrolled: 1-line block ×4, first 2 shown]
	v_mul_f16_sdwa v127, v95, v15 dst_sel:DWORD dst_unused:UNUSED_PAD src0_sel:DWORD src1_sel:WORD_1
	v_mul_f16_sdwa v129, v99, v11 dst_sel:DWORD dst_unused:UNUSED_PAD src0_sel:DWORD src1_sel:WORD_1
	;; [unrolled: 1-line block ×13, first 2 shown]
	v_fma_f16 v94, v12, v94, -v121
	v_mul_f16_sdwa v121, v82, v2 dst_sel:DWORD dst_unused:UNUSED_PAD src0_sel:DWORD src1_sel:WORD_1
	v_fma_f16 v96, v13, v96, -v122
	v_mul_f16_sdwa v122, v108, v2 dst_sel:DWORD dst_unused:UNUSED_PAD src0_sel:DWORD src1_sel:WORD_1
	;; [unrolled: 2-line block ×3, first 2 shown]
	v_fmac_f16_e32 v128, v70, v9
	v_fma_f16 v98, v98, v9, -v130
	v_mul_f16_sdwa v9, v114, v16 dst_sel:DWORD dst_unused:UNUSED_PAD src0_sel:DWORD src1_sel:WORD_1
	v_fma_f16 v99, v99, v11, -v131
	v_mul_f16_sdwa v130, v86, v16 dst_sel:DWORD dst_unused:UNUSED_PAD src0_sel:DWORD src1_sel:WORD_1
	v_fmac_f16_e32 v57, v74, v4
	v_mul_f16_sdwa v74, v118, v55 dst_sel:DWORD dst_unused:UNUSED_PAD src0_sel:DWORD src1_sel:WORD_1
	v_mul_f16_sdwa v131, v90, v55 dst_sel:DWORD dst_unused:UNUSED_PAD src0_sel:DWORD src1_sel:WORD_1
	;; [unrolled: 1-line block ×6, first 2 shown]
	v_fma_f16 v97, v14, v97, -v124
	v_mul_f16_sdwa v124, v83, v3 dst_sel:DWORD dst_unused:UNUSED_PAD src0_sel:DWORD src1_sel:WORD_1
	v_fmac_f16_e32 v66, v12, v31
	v_fmac_f16_e32 v123, v13, v69
	;; [unrolled: 1-line block ×4, first 2 shown]
	v_mul_f16_sdwa v15, v110, v21 dst_sel:DWORD dst_unused:UNUSED_PAD src0_sel:DWORD src1_sel:WORD_1
	v_mul_f16_sdwa v31, v80, v21 dst_sel:DWORD dst_unused:UNUSED_PAD src0_sel:DWORD src1_sel:WORD_1
	;; [unrolled: 1-line block ×6, first 2 shown]
	v_fmac_f16_e32 v129, v68, v11
	v_mul_f16_sdwa v143, v113, v22 dst_sel:DWORD dst_unused:UNUSED_PAD src0_sel:DWORD src1_sel:WORD_1
	v_fma_f16 v14, v100, v8, -v132
	v_mul_f16_sdwa v11, v115, v17 dst_sel:DWORD dst_unused:UNUSED_PAD src0_sel:DWORD src1_sel:WORD_1
	v_fma_f16 v100, v101, v10, -v133
	v_mul_f16_sdwa v101, v81, v17 dst_sel:DWORD dst_unused:UNUSED_PAD src0_sel:DWORD src1_sel:WORD_1
	v_fmac_f16_e32 v64, v73, v8
	v_fmac_f16_e32 v134, v75, v10
	v_mul_f16_sdwa v10, v116, v18 dst_sel:DWORD dst_unused:UNUSED_PAD src0_sel:DWORD src1_sel:WORD_1
	v_mul_f16_sdwa v73, v88, v18 dst_sel:DWORD dst_unused:UNUSED_PAD src0_sel:DWORD src1_sel:WORD_1
	;; [unrolled: 1-line block ×3, first 2 shown]
	v_fmac_f16_e32 v59, v71, v5
	v_mul_f16_sdwa v71, v91, v51 dst_sel:DWORD dst_unused:UNUSED_PAD src0_sel:DWORD src1_sel:WORD_1
	v_mul_f16_sdwa v132, v119, v51 dst_sel:DWORD dst_unused:UNUSED_PAD src0_sel:DWORD src1_sel:WORD_1
	v_fmac_f16_e32 v58, v76, v6
	v_mul_f16_sdwa v8, v120, v93 dst_sel:DWORD dst_unused:UNUSED_PAD src0_sel:DWORD src1_sel:WORD_1
	v_mul_f16_sdwa v76, v92, v93 dst_sel:DWORD dst_unused:UNUSED_PAD src0_sel:DWORD src1_sel:WORD_1
	v_fma_f16 v4, v102, v4, -v135
	v_fmac_f16_e32 v60, v77, v7
	v_fmac_f16_e32 v139, v78, v0
	v_fma_f16 v77, v106, v0, -v140
	v_fma_f16 v102, v108, v2, -v121
	v_fmac_f16_e32 v142, v79, v1
	v_fmac_f16_e32 v122, v82, v2
	;; [unrolled: 1-line block ×4, first 2 shown]
	v_fma_f16 v2, v114, v16, -v130
	v_fmac_f16_e32 v74, v90, v55
	v_fma_f16 v16, v118, v55, -v131
	v_mul_f16_sdwa v68, v87, v22 dst_sel:DWORD dst_unused:UNUSED_PAD src0_sel:DWORD src1_sel:WORD_1
	v_mul_f16_sdwa v75, v89, v19 dst_sel:DWORD dst_unused:UNUSED_PAD src0_sel:DWORD src1_sel:WORD_1
	v_fma_f16 v12, v103, v5, -v136
	v_fma_f16 v78, v107, v1, -v141
	v_fma_f16 v103, v109, v3, -v124
	v_fmac_f16_e32 v15, v80, v21
	v_fmac_f16_e32 v67, v84, v23
	v_fma_f16 v21, v110, v21, -v31
	v_fma_f16 v23, v111, v23, -v69
	;; [unrolled: 1-line block ×3, first 2 shown]
	v_fmac_f16_e32 v72, v85, v20
	v_fmac_f16_e32 v143, v87, v22
	v_fmac_f16_e32 v11, v81, v17
	v_fmac_f16_e32 v10, v88, v18
	v_fma_f16 v3, v115, v17, -v101
	v_fma_f16 v0, v116, v18, -v73
	v_fmac_f16_e32 v13, v89, v19
	v_fma_f16 v17, v119, v51, -v71
	v_fmac_f16_e32 v132, v91, v51
	v_fmac_f16_e32 v8, v92, v93
	v_fma_f16 v1, v120, v93, -v76
	v_sub_f16_e32 v51, v126, v139
	v_sub_f16_e32 v55, v74, v122
	;; [unrolled: 1-line block ×4, first 2 shown]
	v_add_f16_e32 v71, v32, v123
	v_add_f16_e32 v73, v65, v96
	;; [unrolled: 1-line block ×3, first 2 shown]
	v_sub_f16_e32 v91, v127, v123
	v_sub_f16_e32 v93, v142, v125
	v_fma_f16 v5, v104, v6, -v137
	v_fma_f16 v6, v105, v7, -v138
	;; [unrolled: 1-line block ×4, first 2 shown]
	v_sub_f16_e32 v18, v123, v127
	v_sub_f16_e32 v20, v96, v95
	v_add_f16_e32 v75, v66, v126
	v_add_f16_e32 v80, v77, v102
	v_sub_f16_e32 v84, v77, v102
	v_add_f16_e32 v85, v127, v142
	v_add_f16_e32 v86, v95, v78
	v_sub_f16_e32 v88, v95, v78
	v_sub_f16_e32 v90, v127, v142
	;; [unrolled: 1-line block ×6, first 2 shown]
	v_add_f16_e32 v51, v51, v55
	v_sub_f16_e32 v55, v60, v59
	v_add_f16_e32 v69, v69, v70
	v_sub_f16_e32 v70, v11, v13
	v_add_f16_e32 v71, v71, v127
	v_add_f16_e32 v127, v9, v10
	;; [unrolled: 1-line block ×5, first 2 shown]
	v_sub_f16_e32 v77, v9, v58
	v_add_f16_e32 v91, v91, v93
	v_sub_f16_e32 v93, v10, v8
	v_sub_f16_e32 v83, v97, v16
	v_add_f16_e32 v97, v97, v16
	v_sub_f16_e32 v87, v96, v103
	v_add_f16_e32 v96, v96, v103
	v_sub_f16_e32 v104, v78, v103
	v_sub_f16_e32 v105, v139, v126
	;; [unrolled: 1-line block ×4, first 2 shown]
	v_add_f16_e32 v79, v139, v122
	v_sub_f16_e32 v81, v126, v74
	v_sub_f16_e32 v82, v139, v122
	;; [unrolled: 1-line block ×3, first 2 shown]
	v_add_f16_e32 v92, v123, v125
	v_add_f16_e32 v106, v126, v74
	;; [unrolled: 1-line block ×6, first 2 shown]
	v_sub_f16_e32 v124, v31, v100
	v_sub_f16_e32 v126, v68, v17
	;; [unrolled: 1-line block ×3, first 2 shown]
	v_add_f16_e32 v75, v75, v139
	v_add_f16_e32 v139, v57, v58
	v_fma_f16 v80, -0.5, v80, v94
	v_add_f16_e32 v118, v118, v119
	v_sub_f16_e32 v119, v98, v99
	v_add_f16_e32 v55, v55, v70
	v_add_f16_e32 v70, v63, v98
	v_fma_f16 v127, -0.5, v127, v57
	v_fmac_f16_e32 v57, -0.5, v95
	v_add_f16_e32 v95, v99, v21
	v_add_f16_e32 v77, v77, v93
	v_sub_f16_e32 v93, v99, v98
	v_add_f16_e32 v98, v98, v23
	v_fmac_f16_e32 v94, -0.5, v97
	v_add_f16_e32 v121, v100, v17
	v_fma_f16 v86, -0.5, v86, v65
	v_fmac_f16_e32 v65, -0.5, v96
	v_add_f16_e32 v96, v2, v0
	v_add_f16_e32 v101, v101, v104
	v_add_f16_e32 v104, v5, v1
	v_add_f16_e32 v105, v105, v107
	v_sub_f16_e32 v107, v2, v5
	v_sub_f16_e32 v97, v0, v1
	;; [unrolled: 1-line block ×3, first 2 shown]
	v_add_f16_e32 v115, v72, v143
	v_add_f16_e32 v116, v134, v132
	v_sub_f16_e32 v131, v31, v68
	v_sub_f16_e32 v133, v72, v143
	;; [unrolled: 1-line block ×4, first 2 shown]
	v_add_f16_e32 v138, v60, v11
	v_add_f16_e32 v18, v18, v19
	;; [unrolled: 1-line block ×3, first 2 shown]
	v_fma_f16 v79, -0.5, v79, v66
	v_fma_f16 v120, -0.5, v120, v14
	v_sub_f16_e32 v134, v134, v72
	v_add_f16_e32 v124, v124, v126
	v_sub_f16_e32 v126, v132, v143
	v_sub_f16_e32 v100, v100, v31
	v_add_f16_e32 v72, v117, v72
	v_add_f16_e32 v31, v123, v31
	;; [unrolled: 1-line block ×3, first 2 shown]
	v_fma_f16 v95, -0.5, v95, v63
	v_fmac_f16_e32 v63, -0.5, v98
	v_add_f16_e32 v98, v112, v129
	v_add_f16_e32 v71, v71, v142
	;; [unrolled: 1-line block ×5, first 2 shown]
	v_fmamk_f16 v78, v81, 0x3b9c, v80
	v_sub_f16_e32 v109, v102, v16
	v_fmac_f16_e32 v66, -0.5, v106
	v_fma_f16 v85, -0.5, v85, v32
	v_fmamk_f16 v102, v82, 0xbb9c, v94
	v_fmac_f16_e32 v94, 0x3b9c, v82
	v_add_f16_e32 v110, v129, v15
	v_add_f16_e32 v111, v128, v67
	v_add_f16_e32 v106, v4, v5
	v_fmac_f16_e32 v14, -0.5, v121
	v_sub_f16_e32 v121, v23, v21
	v_fma_f16 v96, -0.5, v96, v4
	v_fmac_f16_e32 v4, -0.5, v104
	v_add_f16_e32 v97, v107, v97
	v_sub_f16_e32 v107, v9, v10
	v_fmac_f16_e32 v80, 0xbb9c, v81
	v_sub_f16_e32 v113, v129, v128
	v_sub_f16_e32 v114, v15, v67
	;; [unrolled: 1-line block ×3, first 2 shown]
	v_add_f16_e32 v20, v20, v22
	v_add_f16_e32 v22, v30, v59
	v_fma_f16 v115, -0.5, v115, v64
	v_fmac_f16_e32 v64, -0.5, v116
	v_sub_f16_e32 v116, v67, v15
	v_fma_f16 v138, -0.5, v138, v30
	v_fmac_f16_e32 v30, -0.5, v19
	v_sub_f16_e32 v19, v17, v68
	v_sub_f16_e32 v104, v21, v23
	v_add_f16_e32 v126, v134, v126
	v_sub_f16_e32 v134, v129, v15
	v_fma_f16 v32, -0.5, v92, v32
	v_fmamk_f16 v92, v83, 0xbb9c, v79
	v_add_f16_e32 v15, v98, v15
	v_fmamk_f16 v98, v89, 0x3b9c, v86
	v_add_f16_e32 v72, v72, v143
	v_add_f16_e32 v31, v31, v68
	;; [unrolled: 1-line block ×3, first 2 shown]
	v_fmac_f16_e32 v86, 0xbb9c, v89
	v_fmac_f16_e32 v79, 0x3b9c, v83
	v_add_f16_e32 v71, v71, v125
	v_fmamk_f16 v125, v136, 0x3b9c, v120
	v_add_f16_e32 v73, v73, v103
	v_add_f16_e32 v74, v75, v74
	;; [unrolled: 1-line block ×3, first 2 shown]
	v_fmac_f16_e32 v78, 0x38b4, v82
	v_add_f16_e32 v108, v108, v109
	v_fmamk_f16 v99, v87, 0xbb9c, v85
	v_fmamk_f16 v70, v84, 0x3b9c, v66
	v_fmac_f16_e32 v66, 0xbb9c, v84
	v_fmac_f16_e32 v85, 0x3b9c, v87
	;; [unrolled: 1-line block ×4, first 2 shown]
	v_fma_f16 v110, -0.5, v110, v33
	v_fmac_f16_e32 v33, -0.5, v111
	v_sub_f16_e32 v111, v2, v0
	v_add_f16_e32 v119, v119, v121
	v_sub_f16_e32 v121, v58, v8
	v_fmamk_f16 v122, v133, 0xbb9c, v14
	v_fmac_f16_e32 v14, 0x3b9c, v133
	v_fmamk_f16 v140, v107, 0xbb9c, v4
	v_fmac_f16_e32 v4, 0x3b9c, v107
	v_fmac_f16_e32 v80, 0xb8b4, v82
	v_add_f16_e32 v113, v113, v114
	v_sub_f16_e32 v114, v128, v129
	v_sub_f16_e32 v128, v128, v67
	v_add_f16_e32 v19, v100, v19
	v_fmamk_f16 v103, v137, 0xbb9c, v115
	v_fmac_f16_e32 v98, 0x38b4, v90
	v_fmac_f16_e32 v86, 0xb8b4, v90
	;; [unrolled: 1-line block ×4, first 2 shown]
	v_add_f16_e32 v15, v15, v67
	v_add_f16_e32 v67, v72, v132
	;; [unrolled: 1-line block ×4, first 2 shown]
	v_fmac_f16_e32 v125, 0x38b4, v133
	v_add_f16_e32 v23, v71, v74
	v_add_f16_e32 v31, v73, v16
	v_fmac_f16_e32 v78, 0x34f2, v69
	v_fmamk_f16 v100, v88, 0x3b9c, v32
	v_fmac_f16_e32 v32, 0xbb9c, v88
	v_fmamk_f16 v68, v90, 0xbb9c, v65
	v_fmac_f16_e32 v65, 0x3b9c, v90
	v_fmac_f16_e32 v70, 0xb8b4, v83
	v_fmac_f16_e32 v66, 0x38b4, v83
	v_fmac_f16_e32 v99, 0xb8b4, v88
	v_fmac_f16_e32 v85, 0x38b4, v88
	v_fmac_f16_e32 v102, 0x34f2, v108
	v_fmac_f16_e32 v94, 0x34f2, v108
	v_sub_f16_e32 v109, v6, v3
	v_sub_f16_e32 v117, v5, v1
	v_fmamk_f16 v112, v131, 0x3b9c, v64
	v_fmac_f16_e32 v64, 0xbb9c, v131
	v_fmamk_f16 v129, v111, 0x3b9c, v57
	v_fmac_f16_e32 v57, 0xbb9c, v111
	v_fmac_f16_e32 v14, 0xb8b4, v136
	;; [unrolled: 1-line block ×4, first 2 shown]
	v_fmamk_f16 v75, v135, 0xbb9c, v110
	v_fmamk_f16 v76, v128, 0x3b9c, v95
	v_fmac_f16_e32 v103, 0xb8b4, v131
	v_fmac_f16_e32 v92, 0x34f2, v51
	;; [unrolled: 1-line block ×5, first 2 shown]
	v_add_f16_e32 v20, v15, v67
	v_add_f16_e32 v51, v21, v17
	v_fmac_f16_e32 v125, 0x34f2, v19
	v_pack_b32_f16 v23, v23, v31
	v_mul_f16_e32 v31, 0xb8b4, v78
	v_mul_f16_e32 v69, 0x3a79, v78
	v_fmac_f16_e32 v100, 0xb8b4, v87
	v_fmac_f16_e32 v32, 0x38b4, v87
	;; [unrolled: 1-line block ×8, first 2 shown]
	v_sub_f16_e32 v18, v71, v74
	v_sub_f16_e32 v16, v73, v16
	v_mul_f16_e32 v71, 0xbb9c, v102
	v_mul_f16_e32 v72, 0x34f2, v102
	;; [unrolled: 1-line block ×4, first 2 shown]
	v_add_f16_e32 v114, v114, v116
	v_sub_f16_e32 v116, v12, v7
	v_add_f16_e32 v93, v93, v104
	v_fmamk_f16 v104, v130, 0x3b9c, v33
	v_fmac_f16_e32 v33, 0xbb9c, v130
	v_fmamk_f16 v123, v109, 0x3b9c, v30
	v_fmac_f16_e32 v30, 0xbb9c, v109
	v_fmac_f16_e32 v64, 0x38b4, v137
	;; [unrolled: 1-line block ×5, first 2 shown]
	v_mul_f16_e32 v78, 0xb8b4, v80
	v_mul_f16_e32 v80, 0xba79, v80
	v_fmac_f16_e32 v75, 0xb8b4, v130
	v_fmac_f16_e32 v76, 0x38b4, v134
	;; [unrolled: 1-line block ×3, first 2 shown]
	v_pack_b32_f16 v20, v20, v51
	v_mul_f16_e32 v51, 0xb8b4, v125
	v_mul_f16_e32 v82, 0x3a79, v125
	v_fmac_f16_e32 v31, 0x3a79, v92
	v_fmac_f16_e32 v69, 0x38b4, v92
	;; [unrolled: 1-line block ×14, first 2 shown]
	v_pack_b32_f16 v16, v18, v16
	v_mul_f16_e32 v18, 0xbb9c, v14
	v_mul_f16_e32 v81, 0xbb9c, v4
	v_fmac_f16_e32 v78, 0xba79, v79
	v_fmac_f16_e32 v80, 0x38b4, v79
	;; [unrolled: 1-line block ×6, first 2 shown]
	v_add_f16_e32 v66, v99, v31
	v_add_f16_e32 v70, v98, v69
	;; [unrolled: 1-line block ×6, first 2 shown]
	v_fmac_f16_e32 v33, 0x34f2, v113
	v_fmac_f16_e32 v30, 0x34f2, v55
	;; [unrolled: 1-line block ×4, first 2 shown]
	v_add_f16_e32 v89, v85, v78
	v_add_f16_e32 v90, v86, v80
	v_sub_f16_e32 v31, v99, v31
	v_sub_f16_e32 v71, v100, v71
	;; [unrolled: 1-line block ×8, first 2 shown]
	v_add_f16_e32 v78, v75, v51
	v_add_f16_e32 v80, v76, v82
	v_pack_b32_f16 v66, v66, v70
	v_mul_f16_e32 v14, 0xb4f2, v14
	v_pack_b32_f16 v70, v79, v83
	v_pack_b32_f16 v79, v84, v88
	v_add_f16_e32 v74, v33, v18
	v_sub_f16_e32 v18, v33, v18
	v_add_f16_e32 v33, v30, v81
	v_sub_f16_e32 v30, v30, v81
	v_pack_b32_f16 v81, v89, v90
	v_pack_b32_f16 v31, v31, v69
	;; [unrolled: 1-line block ×6, first 2 shown]
	ds_write2_b32 v61, v23, v66 offset1:30
	ds_write2_b32 v61, v70, v79 offset0:60 offset1:90
	ds_write2_b32 v61, v81, v16 offset0:120 offset1:150
	;; [unrolled: 1-line block ×4, first 2 shown]
	ds_write2_b32 v54, v20, v69 offset1:30
	v_fmac_f16_e32 v14, 0x3b9c, v64
	v_sub_f16_e32 v62, v59, v60
	v_sub_f16_e32 v64, v13, v11
	v_fmamk_f16 v66, v116, 0xbb9c, v138
	v_fmac_f16_e32 v138, 0x3b9c, v116
	v_add_f16_e32 v22, v22, v60
	v_fmac_f16_e32 v123, 0xb8b4, v116
	v_add_f16_e32 v62, v62, v64
	v_fmac_f16_e32 v66, 0xb8b4, v109
	v_fmac_f16_e32 v138, 0x38b4, v109
	v_add_f16_e32 v22, v22, v11
	v_fmac_f16_e32 v123, 0x34f2, v55
	v_add_f16_e32 v55, v56, v12
	v_fmac_f16_e32 v66, 0x34f2, v62
	v_fmac_f16_e32 v138, 0x34f2, v62
	v_add_f16_e32 v62, v6, v3
	v_add_f16_e32 v22, v22, v13
	v_sub_f16_e32 v13, v59, v13
	v_sub_f16_e32 v59, v12, v6
	;; [unrolled: 1-line block ×3, first 2 shown]
	v_add_f16_e32 v55, v55, v6
	v_fma_f16 v62, -0.5, v62, v56
	v_sub_f16_e32 v11, v60, v11
	v_add_f16_e32 v60, v12, v7
	v_add_f16_e32 v59, v59, v64
	;; [unrolled: 1-line block ×3, first 2 shown]
	v_fmamk_f16 v64, v13, 0x3b9c, v62
	v_fmac_f16_e32 v62, 0xbb9c, v13
	v_fmac_f16_e32 v56, -0.5, v60
	v_sub_f16_e32 v6, v6, v12
	v_sub_f16_e32 v3, v3, v7
	v_add_f16_e32 v12, v55, v7
	v_fmac_f16_e32 v64, 0x38b4, v11
	v_fmac_f16_e32 v62, 0xb8b4, v11
	v_fmamk_f16 v7, v11, 0xbb9c, v56
	v_fmac_f16_e32 v56, 0x3b9c, v11
	v_add_f16_e32 v3, v6, v3
	v_add_f16_e32 v6, v139, v9
	v_sub_f16_e32 v9, v58, v9
	v_sub_f16_e32 v11, v8, v10
	v_fmac_f16_e32 v120, 0xbb9c, v136
	v_sub_f16_e32 v5, v5, v2
	v_add_f16_e32 v6, v6, v10
	v_sub_f16_e32 v10, v1, v0
	v_add_f16_e32 v9, v9, v11
	v_fmamk_f16 v11, v121, 0x3b9c, v96
	v_fmac_f16_e32 v122, 0x38b4, v136
	v_fmac_f16_e32 v115, 0x3b9c, v137
	;; [unrolled: 1-line block ×4, first 2 shown]
	v_fmamk_f16 v55, v117, 0xbb9c, v127
	v_add_f16_e32 v5, v5, v10
	v_fmac_f16_e32 v11, 0x38b4, v107
	v_fmamk_f16 v87, v134, 0xbb9c, v63
	v_fmac_f16_e32 v63, 0x3b9c, v134
	v_fmac_f16_e32 v112, 0xb8b4, v137
	;; [unrolled: 1-line block ×3, first 2 shown]
	v_add_f16_e32 v2, v106, v2
	v_fmac_f16_e32 v140, 0x38b4, v121
	v_fmac_f16_e32 v110, 0x3b9c, v135
	;; [unrolled: 1-line block ×15, first 2 shown]
	v_mul_f16_e32 v16, 0xbb9c, v122
	v_mul_f16_e32 v19, 0x34f2, v122
	v_fmac_f16_e32 v129, 0xb8b4, v117
	v_add_f16_e32 v0, v2, v0
	v_fmac_f16_e32 v140, 0x34f2, v97
	v_fmac_f16_e32 v110, 0x38b4, v130
	;; [unrolled: 1-line block ×4, first 2 shown]
	v_mul_f16_e32 v20, 0xb8b4, v120
	v_mul_f16_e32 v23, 0xba79, v120
	v_fmac_f16_e32 v127, 0x38b4, v111
	v_fmac_f16_e32 v96, 0x34f2, v5
	;; [unrolled: 1-line block ×4, first 2 shown]
	v_add_f16_e32 v3, v6, v8
	v_fmac_f16_e32 v55, 0x34f2, v9
	v_mul_f16_e32 v2, 0xb8b4, v11
	v_mul_f16_e32 v6, 0x3a79, v11
	v_fmac_f16_e32 v104, 0x34f2, v113
	v_fmac_f16_e32 v87, 0x34f2, v93
	;; [unrolled: 1-line block ×6, first 2 shown]
	v_add_f16_e32 v0, v0, v1
	v_mul_f16_e32 v1, 0xbb9c, v140
	v_mul_f16_e32 v5, 0x34f2, v140
	;; [unrolled: 1-line block ×3, first 2 shown]
	v_fmac_f16_e32 v110, 0x34f2, v114
	v_fmac_f16_e32 v95, 0x34f2, v119
	;; [unrolled: 1-line block ×5, first 2 shown]
	v_mul_f16_e32 v8, 0xb8b4, v96
	v_mul_f16_e32 v9, 0xba79, v96
	v_sub_f16_e32 v15, v15, v67
	v_sub_f16_e32 v31, v75, v51
	;; [unrolled: 1-line block ×4, first 2 shown]
	v_fmac_f16_e32 v64, 0x34f2, v59
	v_fmac_f16_e32 v2, 0x3a79, v55
	;; [unrolled: 1-line block ×3, first 2 shown]
	v_add_f16_e32 v32, v104, v16
	v_add_f16_e32 v61, v87, v19
	;; [unrolled: 1-line block ×3, first 2 shown]
	v_fmac_f16_e32 v1, 0x34f2, v129
	v_fmac_f16_e32 v5, 0x3b9c, v129
	v_fmac_f16_e32 v4, 0x3b9c, v57
	v_add_f16_e32 v51, v110, v20
	v_sub_f16_e32 v14, v63, v14
	v_add_f16_e32 v63, v95, v23
	v_fmac_f16_e32 v62, 0x34f2, v59
	v_fmac_f16_e32 v8, 0xba79, v127
	;; [unrolled: 1-line block ×3, first 2 shown]
	v_sub_f16_e32 v16, v104, v16
	v_sub_f16_e32 v19, v87, v19
	;; [unrolled: 1-line block ×4, first 2 shown]
	v_add_f16_e32 v10, v22, v3
	v_add_f16_e32 v11, v66, v2
	;; [unrolled: 1-line block ×3, first 2 shown]
	v_sub_f16_e32 v0, v12, v0
	v_add_f16_e32 v12, v64, v6
	v_pack_b32_f16 v15, v15, v17
	v_pack_b32_f16 v17, v31, v21
	v_mul_u32_u24_e32 v21, 0x4b0, v52
	v_lshlrev_b32_sdwa v31, v50, v53 dst_sel:DWORD dst_unused:UNUSED_PAD src0_sel:DWORD src1_sel:WORD_0
	v_sub_f16_e32 v3, v22, v3
	v_add_f16_e32 v13, v123, v1
	v_sub_f16_e32 v1, v123, v1
	v_add_f16_e32 v58, v7, v5
	;; [unrolled: 2-line block ×3, first 2 shown]
	v_pack_b32_f16 v32, v32, v61
	v_pack_b32_f16 v59, v74, v65
	v_add_f16_e32 v22, v138, v8
	v_sub_f16_e32 v4, v56, v4
	v_add_f16_e32 v56, v62, v9
	v_pack_b32_f16 v51, v51, v63
	v_pack_b32_f16 v16, v16, v19
	;; [unrolled: 1-line block ×4, first 2 shown]
	v_add_nc_u32_e32 v19, 0x200, v54
	v_add3_u32 v20, 0, v21, v31
	v_pack_b32_f16 v10, v10, v57
	v_pack_b32_f16 v11, v11, v12
	v_sub_f16_e32 v2, v66, v2
	v_sub_f16_e32 v6, v64, v6
	ds_write2_b32 v54, v32, v59 offset0:60 offset1:90
	ds_write2_b32 v54, v51, v15 offset0:120 offset1:150
	;; [unrolled: 1-line block ×4, first 2 shown]
	ds_write2_b32 v20, v10, v11 offset1:30
	v_pack_b32_f16 v10, v13, v58
	v_pack_b32_f16 v7, v33, v7
	;; [unrolled: 1-line block ×4, first 2 shown]
	v_lshlrev_b32_e32 v0, 1, v24
	v_mov_b32_e32 v1, 0
	v_pack_b32_f16 v11, v22, v56
	v_sub_f16_e32 v55, v138, v8
	v_sub_f16_e32 v9, v62, v9
	v_pack_b32_f16 v6, v2, v6
	ds_write2_b32 v20, v10, v7 offset0:60 offset1:90
	ds_write2_b32 v20, v11, v3 offset0:120 offset1:150
	v_lshlrev_b64 v[2:3], 2, v[0:1]
	v_pack_b32_f16 v4, v30, v4
	v_pack_b32_f16 v9, v55, v9
	v_add_nc_u32_e32 v12, 0x200, v20
	ds_write2_b32 v20, v6, v5 offset0:180 offset1:210
	ds_write2_b32 v12, v4, v9 offset0:112 offset1:142
	v_add_co_u32 v6, s0, s12, v2
	v_add_co_ci_u32_e64 v7, s0, s13, v3, s0
	v_add_nc_u32_e32 v8, 0x10e, v24
	v_subrev_nc_u32_e32 v9, 30, v24
	v_cmp_gt_u32_e64 s0, 30, v24
	v_lshlrev_b32_e32 v4, 1, v48
	v_mov_b32_e32 v5, v1
	v_mov_b32_e32 v10, v1
	v_add_nc_u32_e32 v11, 0x78, v0
	v_cndmask_b32_e64 v13, v9, v8, s0
	v_mov_b32_e32 v12, v1
	v_lshlrev_b64 v[2:3], 2, v[4:5]
	v_lshlrev_b32_e32 v4, 1, v49
	v_add_nc_u32_e32 v14, 0x12c, v0
	v_lshlrev_b32_e32 v9, 1, v13
	v_mov_b32_e32 v15, v1
	v_lshlrev_b64 v[11:12], 2, v[11:12]
	v_lshlrev_b64 v[4:5], 2, v[4:5]
	v_add_co_u32 v2, s0, s12, v2
	v_lshlrev_b64 v[9:10], 2, v[9:10]
	v_add_co_ci_u32_e64 v3, s0, s13, v3, s0
	v_add_co_u32 v4, s0, s12, v4
	v_add_co_ci_u32_e64 v5, s0, s13, v5, s0
	v_add_co_u32 v9, s0, s12, v9
	v_lshlrev_b64 v[14:15], 2, v[14:15]
	v_add_co_ci_u32_e64 v10, s0, s13, v10, s0
	v_add_co_u32 v11, s0, s12, v11
	v_add_co_ci_u32_e64 v12, s0, s13, v12, s0
	v_add_co_u32 v14, s0, s12, v14
	v_add_co_ci_u32_e64 v15, s0, s13, v15, s0
	s_waitcnt lgkmcnt(0)
	s_barrier
	buffer_gl0_inv
	s_clause 0x5
	global_load_dwordx2 v[19:20], v[6:7], off offset:1188
	global_load_dwordx2 v[21:22], v[2:3], off offset:1188
	;; [unrolled: 1-line block ×6, first 2 shown]
	v_add_nc_u32_e32 v9, 0x21c, v24
	v_mov_b32_e32 v16, 0x6d3b
	v_add_nc_u32_e32 v10, 0x276, v24
	v_mov_b32_e32 v17, 3
	v_cmp_lt_u32_e64 s0, 29, v24
	v_lshrrev_b16 v11, 2, v9
	v_lshlrev_b32_e32 v13, 2, v13
	v_lshrrev_b16 v12, 2, v10
	v_mul_u32_u24_sdwa v11, v11, v16 dst_sel:DWORD dst_unused:UNUSED_PAD src0_sel:WORD_0 src1_sel:DWORD
	v_lshrrev_b32_e32 v14, 21, v11
	v_mul_u32_u24_sdwa v11, v12, v16 dst_sel:DWORD dst_unused:UNUSED_PAD src0_sel:WORD_0 src1_sel:DWORD
	v_add_nc_u32_e32 v12, 0x2d0, v24
	v_mul_lo_u16 v15, 0x12c, v14
	v_lshrrev_b32_e32 v18, 21, v11
	v_lshrrev_b16 v23, 2, v12
	v_add_nc_u32_e32 v11, 0x32a, v24
	v_mul_u32_u24_e32 v14, 0xe10, v14
	v_sub_nc_u16 v15, v9, v15
	v_mul_lo_u16 v18, 0x12c, v18
	v_mul_u32_u24_sdwa v23, v23, v16 dst_sel:DWORD dst_unused:UNUSED_PAD src0_sel:WORD_0 src1_sel:DWORD
	v_lshrrev_b16 v55, 2, v11
	v_lshlrev_b32_sdwa v17, v17, v15 dst_sel:DWORD dst_unused:UNUSED_PAD src0_sel:DWORD src1_sel:WORD_0
	v_sub_nc_u16 v18, v10, v18
	v_lshrrev_b32_e32 v23, 21, v23
	v_mul_u32_u24_sdwa v16, v55, v16 dst_sel:DWORD dst_unused:UNUSED_PAD src0_sel:WORD_0 src1_sel:DWORD
	v_lshlrev_b32_sdwa v15, v50, v15 dst_sel:DWORD dst_unused:UNUSED_PAD src0_sel:DWORD src1_sel:WORD_0
	global_load_dwordx2 v[53:54], v17, s[12:13] offset:1188
	v_and_b32_e32 v18, 0xffff, v18
	v_mul_lo_u16 v17, 0x12c, v23
	v_lshrrev_b32_e32 v16, 21, v16
	v_add3_u32 v14, 0, v14, v15
	v_lshlrev_b32_e32 v23, 3, v18
	v_sub_nc_u16 v17, v12, v17
	v_mul_lo_u16 v16, 0x12c, v16
	v_lshl_add_u32 v18, v18, 2, 0
	global_load_dwordx2 v[55:56], v23, s[12:13] offset:1188
	v_and_b32_e32 v17, 0xffff, v17
	v_sub_nc_u16 v16, v11, v16
	v_lshlrev_b32_e32 v23, 3, v17
	v_and_b32_e32 v16, 0xffff, v16
	global_load_dwordx2 v[57:58], v23, s[12:13] offset:1188
	v_lshlrev_b32_e32 v23, 3, v16
	v_lshl_add_u32 v16, v16, 2, 0
	global_load_dwordx2 v[59:60], v23, s[12:13] offset:1188
	ds_read2_b32 v[61:62], v46 offset0:132 offset1:222
	ds_read2_b32 v[63:64], v47 offset0:8 offset1:98
	;; [unrolled: 1-line block ×8, first 2 shown]
	s_waitcnt lgkmcnt(7)
	v_lshrrev_b32_e32 v23, 16, v61
	s_waitcnt lgkmcnt(6)
	v_lshrrev_b32_e32 v77, 16, v63
	v_lshrrev_b32_e32 v78, 16, v62
	v_lshrrev_b32_e32 v79, 16, v64
	s_waitcnt lgkmcnt(5)
	v_lshrrev_b32_e32 v80, 16, v65
	s_waitcnt lgkmcnt(4)
	v_lshrrev_b32_e32 v81, 16, v67
	v_lshrrev_b32_e32 v82, 16, v66
	;; [unrolled: 1-line block ×3, first 2 shown]
	s_waitcnt lgkmcnt(3)
	v_lshrrev_b32_e32 v84, 16, v69
	v_lshrrev_b32_e32 v86, 16, v70
	s_waitcnt lgkmcnt(2)
	v_lshrrev_b32_e32 v85, 16, v71
	v_lshrrev_b32_e32 v87, 16, v72
	s_waitcnt vmcnt(9)
	v_mul_f16_sdwa v88, v19, v61 dst_sel:DWORD dst_unused:UNUSED_PAD src0_sel:WORD_1 src1_sel:DWORD
	v_mul_f16_sdwa v89, v20, v63 dst_sel:DWORD dst_unused:UNUSED_PAD src0_sel:WORD_1 src1_sel:DWORD
	v_mul_f16_sdwa v90, v19, v23 dst_sel:DWORD dst_unused:UNUSED_PAD src0_sel:WORD_1 src1_sel:DWORD
	v_mul_f16_sdwa v91, v20, v77 dst_sel:DWORD dst_unused:UNUSED_PAD src0_sel:WORD_1 src1_sel:DWORD
	s_waitcnt vmcnt(8)
	v_mul_f16_sdwa v92, v78, v21 dst_sel:DWORD dst_unused:UNUSED_PAD src0_sel:DWORD src1_sel:WORD_1
	v_mul_f16_sdwa v93, v79, v22 dst_sel:DWORD dst_unused:UNUSED_PAD src0_sel:DWORD src1_sel:WORD_1
	;; [unrolled: 1-line block ×4, first 2 shown]
	s_waitcnt vmcnt(7)
	v_mul_f16_sdwa v96, v65, v30 dst_sel:DWORD dst_unused:UNUSED_PAD src0_sel:DWORD src1_sel:WORD_1
	v_mul_f16_sdwa v97, v67, v31 dst_sel:DWORD dst_unused:UNUSED_PAD src0_sel:DWORD src1_sel:WORD_1
	v_mul_f16_sdwa v98, v80, v30 dst_sel:DWORD dst_unused:UNUSED_PAD src0_sel:DWORD src1_sel:WORD_1
	v_mul_f16_sdwa v99, v81, v31 dst_sel:DWORD dst_unused:UNUSED_PAD src0_sel:DWORD src1_sel:WORD_1
	v_fma_f16 v23, v19, v23, -v88
	v_fma_f16 v77, v20, v77, -v89
	v_fmac_f16_e32 v90, v19, v61
	v_fmac_f16_e32 v91, v20, v63
	;; [unrolled: 1-line block ×4, first 2 shown]
	v_fma_f16 v61, v78, v21, -v94
	v_fma_f16 v62, v79, v22, -v95
	ds_read2_b32 v[19:20], v43 offset0:84 offset1:174
	ds_read2_b32 v[21:22], v44 offset0:88 offset1:178
	s_waitcnt vmcnt(6)
	v_mul_f16_sdwa v100, v82, v32 dst_sel:DWORD dst_unused:UNUSED_PAD src0_sel:DWORD src1_sel:WORD_1
	v_mul_f16_sdwa v101, v83, v33 dst_sel:DWORD dst_unused:UNUSED_PAD src0_sel:DWORD src1_sel:WORD_1
	;; [unrolled: 1-line block ×4, first 2 shown]
	s_waitcnt vmcnt(5)
	v_mul_f16_sdwa v104, v69, v48 dst_sel:DWORD dst_unused:UNUSED_PAD src0_sel:DWORD src1_sel:WORD_1
	v_mul_f16_sdwa v105, v84, v48 dst_sel:DWORD dst_unused:UNUSED_PAD src0_sel:DWORD src1_sel:WORD_1
	s_waitcnt vmcnt(4)
	v_mul_f16_sdwa v108, v86, v51 dst_sel:DWORD dst_unused:UNUSED_PAD src0_sel:DWORD src1_sel:WORD_1
	v_fma_f16 v63, v80, v30, -v96
	v_fma_f16 v64, v81, v31, -v97
	v_fmac_f16_e32 v98, v65, v30
	v_fmac_f16_e32 v99, v67, v31
	s_waitcnt lgkmcnt(3)
	v_lshrrev_b32_e32 v30, 16, v73
	v_mul_f16_sdwa v106, v71, v49 dst_sel:DWORD dst_unused:UNUSED_PAD src0_sel:DWORD src1_sel:WORD_1
	v_mul_f16_sdwa v107, v85, v49 dst_sel:DWORD dst_unused:UNUSED_PAD src0_sel:DWORD src1_sel:WORD_1
	;; [unrolled: 1-line block ×4, first 2 shown]
	v_fmac_f16_e32 v100, v66, v32
	v_fmac_f16_e32 v101, v68, v33
	v_fma_f16 v65, v82, v32, -v102
	s_waitcnt vmcnt(3)
	v_mul_f16_sdwa v31, v73, v53 dst_sel:DWORD dst_unused:UNUSED_PAD src0_sel:DWORD src1_sel:WORD_1
	v_fma_f16 v66, v83, v33, -v103
	v_fma_f16 v67, v84, v48, -v104
	v_fmac_f16_e32 v105, v69, v48
	v_fmac_f16_e32 v108, v70, v51
	s_waitcnt lgkmcnt(2)
	v_lshrrev_b32_e32 v32, 16, v75
	v_mul_f16_sdwa v33, v75, v54 dst_sel:DWORD dst_unused:UNUSED_PAD src0_sel:DWORD src1_sel:WORD_1
	v_fma_f16 v69, v30, v53, -v31
	v_mul_f16_sdwa v70, v30, v53 dst_sel:DWORD dst_unused:UNUSED_PAD src0_sel:DWORD src1_sel:WORD_1
	v_lshrrev_b32_e32 v48, 16, v74
	ds_read2_b32 v[30:31], v34 offset1:90
	v_mul_f16_sdwa v111, v72, v52 dst_sel:DWORD dst_unused:UNUSED_PAD src0_sel:DWORD src1_sel:WORD_1
	v_fma_f16 v68, v85, v49, -v106
	v_fmac_f16_e32 v107, v71, v49
	v_fmac_f16_e32 v110, v72, v52
	v_fma_f16 v71, v32, v54, -v33
	v_lshrrev_b32_e32 v33, 16, v76
	v_mul_f16_sdwa v72, v32, v54 dst_sel:DWORD dst_unused:UNUSED_PAD src0_sel:DWORD src1_sel:WORD_1
	v_fmac_f16_e32 v70, v73, v53
	s_waitcnt vmcnt(2)
	v_mul_f16_sdwa v53, v48, v55 dst_sel:DWORD dst_unused:UNUSED_PAD src0_sel:DWORD src1_sel:WORD_1
	v_mul_f16_sdwa v32, v74, v55 dst_sel:DWORD dst_unused:UNUSED_PAD src0_sel:DWORD src1_sel:WORD_1
	;; [unrolled: 1-line block ×4, first 2 shown]
	v_fmac_f16_e32 v72, v75, v54
	v_fmac_f16_e32 v53, v74, v55
	v_fma_f16 v54, v48, v55, -v32
	v_fma_f16 v55, v33, v56, -v49
	s_waitcnt lgkmcnt(2)
	v_lshrrev_b32_e32 v32, 16, v19
	s_waitcnt lgkmcnt(1)
	v_lshrrev_b32_e32 v33, 16, v21
	v_fmac_f16_e32 v73, v76, v56
	s_waitcnt vmcnt(1)
	v_mul_f16_sdwa v48, v19, v57 dst_sel:DWORD dst_unused:UNUSED_PAD src0_sel:DWORD src1_sel:WORD_1
	v_mul_f16_sdwa v56, v21, v58 dst_sel:DWORD dst_unused:UNUSED_PAD src0_sel:DWORD src1_sel:WORD_1
	;; [unrolled: 1-line block ×4, first 2 shown]
	v_lshrrev_b32_e32 v49, 16, v20
	v_fma_f16 v76, v32, v57, -v48
	v_fma_f16 v56, v33, v58, -v56
	v_fmac_f16_e32 v74, v19, v57
	v_fmac_f16_e32 v75, v21, v58
	s_waitcnt lgkmcnt(0)
	v_lshrrev_b32_e32 v57, 16, v30
	v_lshrrev_b32_e32 v58, 16, v31
	s_waitcnt vmcnt(0)
	v_mul_f16_sdwa v78, v49, v59 dst_sel:DWORD dst_unused:UNUSED_PAD src0_sel:DWORD src1_sel:WORD_1
	v_lshrrev_b32_e32 v19, 16, v22
	v_add_f16_e32 v21, v30, v90
	v_add_f16_e32 v32, v57, v23
	;; [unrolled: 1-line block ×4, first 2 shown]
	v_fmac_f16_e32 v78, v20, v59
	v_mul_f16_sdwa v20, v20, v59 dst_sel:DWORD dst_unused:UNUSED_PAD src0_sel:DWORD src1_sel:WORD_1
	v_mul_f16_sdwa v79, v19, v60 dst_sel:DWORD dst_unused:UNUSED_PAD src0_sel:DWORD src1_sel:WORD_1
	;; [unrolled: 1-line block ×3, first 2 shown]
	v_add_f16_e32 v21, v21, v91
	v_add_f16_e32 v32, v32, v77
	;; [unrolled: 1-line block ×6, first 2 shown]
	v_fmac_f16_e32 v79, v22, v60
	v_fma_f16 v59, v49, v59, -v20
	v_fma_f16 v60, v19, v60, -v80
	v_pack_b32_f16 v80, v21, v32
	v_pack_b32_f16 v81, v33, v48
	ds_read2_b32 v[19:20], v45 offset0:52 offset1:142
	ds_read2_b32 v[21:22], v38 offset0:104 offset1:194
	;; [unrolled: 1-line block ×3, first 2 shown]
	v_fmac_f16_e32 v31, -0.5, v82
	v_sub_f16_e32 v61, v61, v62
	v_fmac_f16_e32 v58, -0.5, v83
	v_add_f16_e32 v62, v90, v91
	v_add_f16_e32 v83, v23, v77
	v_sub_f16_e32 v82, v92, v93
	v_fmamk_f16 v84, v61, 0xbaee, v31
	v_fmac_f16_e32 v31, 0x3aee, v61
	v_fma_f16 v30, -0.5, v62, v30
	v_sub_f16_e32 v23, v23, v77
	v_fmac_f16_e32 v57, -0.5, v83
	v_sub_f16_e32 v61, v90, v91
	v_fmamk_f16 v62, v82, 0x3aee, v58
	v_fmac_f16_e32 v58, 0xbaee, v82
	v_fmamk_f16 v77, v23, 0xbaee, v30
	v_fmac_f16_e32 v30, 0x3aee, v23
	;; [unrolled: 2-line block ×3, first 2 shown]
	v_pack_b32_f16 v31, v31, v58
	s_waitcnt lgkmcnt(2)
	v_lshrrev_b32_e32 v58, 16, v19
	v_add_f16_e32 v61, v98, v99
	ds_read2_b32 v[48:49], v42 offset0:80 offset1:170
	v_pack_b32_f16 v30, v30, v57
	v_add_f16_e32 v57, v63, v64
	s_waitcnt lgkmcnt(0)
	s_barrier
	buffer_gl0_inv
	ds_write2_b32 v34, v80, v81 offset1:90
	v_add_f16_e32 v80, v19, v98
	v_add_f16_e32 v81, v58, v63
	v_sub_f16_e32 v63, v63, v64
	v_fmac_f16_e32 v58, -0.5, v57
	v_fma_f16 v19, -0.5, v61, v19
	v_sub_f16_e32 v57, v98, v99
	v_add_f16_e32 v61, v80, v99
	v_add_f16_e32 v64, v81, v64
	ds_write2_b32 v41, v30, v31 offset0:88 offset1:178
	v_fmamk_f16 v30, v63, 0xbaee, v19
	v_fmamk_f16 v31, v57, 0x3aee, v58
	v_pack_b32_f16 v23, v77, v23
	v_pack_b32_f16 v61, v61, v64
	v_add_f16_e32 v64, v100, v101
	v_add_f16_e32 v77, v65, v66
	v_pack_b32_f16 v30, v30, v31
	v_lshrrev_b32_e32 v31, 16, v20
	v_add_f16_e32 v80, v20, v100
	v_fmac_f16_e32 v20, -0.5, v64
	v_sub_f16_e32 v64, v65, v66
	v_pack_b32_f16 v62, v84, v62
	v_add_f16_e32 v65, v31, v65
	v_fmac_f16_e32 v31, -0.5, v77
	v_sub_f16_e32 v77, v100, v101
	ds_write2_b32 v45, v61, v23 offset0:52 offset1:172
	ds_write2_b32 v38, v62, v30 offset0:134 offset1:224
	v_fmac_f16_e32 v19, 0x3aee, v63
	v_fmac_f16_e32 v58, 0xbaee, v57
	v_cndmask_b32_e64 v57, 0, 0xe10, s0
	v_add_f16_e32 v61, v80, v101
	v_add_f16_e32 v62, v65, v66
	v_fmamk_f16 v23, v64, 0xbaee, v20
	v_fmac_f16_e32 v20, 0x3aee, v64
	v_fmamk_f16 v30, v77, 0x3aee, v31
	v_fmac_f16_e32 v31, 0xbaee, v77
	v_pack_b32_f16 v19, v19, v58
	v_add3_u32 v13, 0, v57, v13
	v_pack_b32_f16 v57, v61, v62
	v_fma_f16 v51, v86, v51, -v109
	v_fma_f16 v52, v87, v52, -v111
	v_pack_b32_f16 v20, v20, v31
	v_lshrrev_b32_e32 v31, 16, v21
	v_add_f16_e32 v61, v67, v68
	ds_write_b32 v34, v19 offset:3120
	ds_write_b32 v13, v57
	v_lshrrev_b32_e32 v57, 16, v22
	v_pack_b32_f16 v23, v23, v30
	v_add_f16_e32 v30, v31, v67
	v_add_f16_e32 v64, v108, v110
	v_add_f16_e32 v65, v105, v107
	v_fmac_f16_e32 v31, -0.5, v61
	v_add_f16_e32 v61, v51, v52
	v_add_f16_e32 v19, v21, v105
	v_add_f16_e32 v58, v22, v108
	v_add_f16_e32 v62, v57, v51
	v_sub_f16_e32 v63, v67, v68
	v_sub_f16_e32 v66, v105, v107
	v_fmac_f16_e32 v22, -0.5, v64
	v_fma_f16 v21, -0.5, v65, v21
	v_sub_f16_e32 v51, v51, v52
	v_fmac_f16_e32 v57, -0.5, v61
	v_sub_f16_e32 v61, v108, v110
	v_add_f16_e32 v19, v19, v107
	v_add_f16_e32 v30, v30, v68
	;; [unrolled: 1-line block ×4, first 2 shown]
	v_fmamk_f16 v62, v63, 0xbaee, v21
	v_fmamk_f16 v64, v66, 0x3aee, v31
	;; [unrolled: 1-line block ×4, first 2 shown]
	v_fmac_f16_e32 v22, 0x3aee, v51
	v_fmac_f16_e32 v57, 0xbaee, v61
	v_pack_b32_f16 v19, v19, v30
	v_pack_b32_f16 v30, v58, v52
	v_add_nc_u32_e32 v52, 0xe00, v34
	v_pack_b32_f16 v58, v62, v64
	v_pack_b32_f16 v62, v65, v67
	ds_write_b32 v13, v23 offset:1200
	ds_write_b32 v13, v20 offset:2400
	ds_write2_b32 v52, v19, v30 offset0:64 offset1:154
	ds_write2_b32 v36, v58, v62 offset0:108 offset1:198
	v_pack_b32_f16 v13, v22, v57
	v_fmac_f16_e32 v21, 0x3aee, v63
	v_lshrrev_b32_e32 v19, 16, v32
	v_add_f16_e32 v20, v70, v72
	v_fmac_f16_e32 v31, 0xbaee, v66
	v_add_f16_e32 v22, v69, v71
	v_add_f16_e32 v23, v32, v70
	v_add_f16_e32 v30, v19, v69
	v_fma_f16 v20, -0.5, v20, v32
	v_sub_f16_e32 v32, v69, v71
	v_fmac_f16_e32 v19, -0.5, v22
	v_add_f16_e32 v22, v23, v72
	v_pack_b32_f16 v21, v21, v31
	v_sub_f16_e32 v23, v70, v72
	v_fmamk_f16 v31, v32, 0xbaee, v20
	v_fmac_f16_e32 v20, 0x3aee, v32
	v_add_f16_e32 v32, v54, v55
	ds_write2_b32 v43, v21, v13 offset0:24 offset1:114
	v_add_f16_e32 v13, v53, v73
	v_fmamk_f16 v21, v23, 0x3aee, v19
	v_fmac_f16_e32 v19, 0xbaee, v23
	v_lshrrev_b32_e32 v23, 16, v33
	v_add_f16_e32 v51, v33, v53
	v_fmac_f16_e32 v33, -0.5, v13
	v_sub_f16_e32 v13, v54, v55
	v_add_f16_e32 v57, v48, v74
	v_add_f16_e32 v52, v23, v54
	v_fmac_f16_e32 v23, -0.5, v32
	v_sub_f16_e32 v32, v53, v73
	v_fmamk_f16 v53, v13, 0xbaee, v33
	v_fmac_f16_e32 v33, 0x3aee, v13
	v_add_f16_e32 v13, v52, v55
	v_add_f16_e32 v54, v74, v75
	v_fmamk_f16 v52, v32, 0x3aee, v23
	v_fmac_f16_e32 v23, 0xbaee, v32
	v_lshrrev_b32_e32 v32, 16, v48
	v_add_f16_e32 v55, v76, v56
	v_fma_f16 v48, -0.5, v54, v48
	v_sub_f16_e32 v54, v76, v56
	v_add_f16_e32 v30, v30, v71
	v_add_f16_e32 v58, v32, v76
	v_fmac_f16_e32 v32, -0.5, v55
	v_sub_f16_e32 v55, v74, v75
	v_fmamk_f16 v61, v54, 0xbaee, v48
	v_fmac_f16_e32 v48, 0x3aee, v54
	v_add_f16_e32 v54, v58, v56
	v_add_f16_e32 v58, v78, v79
	v_lshrrev_b32_e32 v62, 16, v49
	v_add_f16_e32 v63, v59, v60
	v_pack_b32_f16 v15, v22, v30
	v_add_f16_e32 v51, v51, v73
	v_fmamk_f16 v56, v55, 0x3aee, v32
	v_fmac_f16_e32 v32, 0xbaee, v55
	v_add_f16_e32 v55, v49, v78
	v_fmac_f16_e32 v49, -0.5, v58
	v_add_f16_e32 v58, v62, v59
	v_fmac_f16_e32 v62, -0.5, v63
	v_sub_f16_e32 v50, v59, v60
	v_sub_f16_e32 v59, v78, v79
	v_add_f16_e32 v57, v57, v75
	ds_write_b32 v14, v15
	v_pack_b32_f16 v15, v31, v21
	v_pack_b32_f16 v19, v20, v19
	v_pack_b32_f16 v13, v51, v13
	v_add_f16_e32 v55, v55, v79
	v_add_f16_e32 v30, v58, v60
	v_pack_b32_f16 v20, v53, v52
	v_fmamk_f16 v22, v50, 0xbaee, v49
	v_fmac_f16_e32 v49, 0x3aee, v50
	v_fmamk_f16 v50, v59, 0x3aee, v62
	v_pack_b32_f16 v21, v33, v23
	v_fmac_f16_e32 v62, 0xbaee, v59
	ds_write_b32 v14, v15 offset:1200
	ds_write_b32 v14, v19 offset:2400
	;; [unrolled: 1-line block ×5, first 2 shown]
	v_lshl_add_u32 v13, v17, 2, 0
	v_pack_b32_f16 v14, v57, v54
	v_pack_b32_f16 v15, v61, v56
	;; [unrolled: 1-line block ×5, first 2 shown]
	ds_write_b32 v13, v14 offset:7200
	ds_write_b32 v13, v15 offset:8400
	;; [unrolled: 1-line block ×5, first 2 shown]
	v_pack_b32_f16 v13, v49, v62
	v_mov_b32_e32 v14, v1
	v_add_co_u32 v6, s0, 0x800, v6
	v_add_co_ci_u32_e64 v7, s0, 0, v7, s0
	ds_write_b32 v16, v13 offset:9600
	v_lshlrev_b32_e32 v13, 1, v8
	v_add_co_u32 v2, s0, 0x800, v2
	v_add_co_ci_u32_e64 v3, s0, 0, v3, s0
	v_lshlrev_b64 v[13:14], 2, v[13:14]
	v_add_co_u32 v4, s0, 0x800, v4
	v_add_co_ci_u32_e64 v5, s0, 0, v5, s0
	s_waitcnt lgkmcnt(0)
	v_add_co_u32 v8, s0, s12, v13
	v_add_co_ci_u32_e64 v16, s0, s13, v14, s0
	v_add_nc_u32_e32 v13, 0x2d0, v0
	v_mov_b32_e32 v14, v1
	s_barrier
	buffer_gl0_inv
	s_clause 0x1
	global_load_dwordx2 v[6:7], v[6:7], off offset:1540
	global_load_dwordx2 v[2:3], v[2:3], off offset:1540
	v_add_co_u32 v15, s0, 0x800, v8
	v_lshlrev_b64 v[13:14], 2, v[13:14]
	v_add_nc_u32_e32 v0, 0x384, v0
	v_add_co_ci_u32_e64 v16, s0, 0, v16, s0
	s_clause 0x1
	global_load_dwordx2 v[4:5], v[4:5], off offset:1540
	global_load_dwordx2 v[15:16], v[15:16], off offset:1540
	v_add_co_u32 v8, s0, s12, v13
	v_add_co_ci_u32_e64 v18, s0, s13, v14, s0
	v_lshlrev_b64 v[13:14], 2, v[0:1]
	v_add_co_u32 v17, s0, 0x800, v8
	v_lshlrev_b32_e32 v0, 1, v9
	v_add_co_ci_u32_e64 v18, s0, 0, v18, s0
	v_add_co_u32 v19, s0, s12, v13
	v_add_co_ci_u32_e64 v20, s0, s13, v14, s0
	v_lshlrev_b64 v[13:14], 2, v[0:1]
	global_load_dwordx2 v[8:9], v[17:18], off offset:1540
	v_add_co_u32 v17, s0, 0x800, v19
	v_add_co_ci_u32_e64 v18, s0, 0, v20, s0
	v_add_co_u32 v13, s0, s12, v13
	v_add_co_ci_u32_e64 v14, s0, s13, v14, s0
	v_lshlrev_b32_e32 v0, 1, v10
	v_add_co_u32 v13, s0, 0x800, v13
	v_add_co_ci_u32_e64 v14, s0, 0, v14, s0
	v_lshlrev_b64 v[19:20], 2, v[0:1]
	s_clause 0x1
	global_load_dwordx2 v[17:18], v[17:18], off offset:1540
	global_load_dwordx2 v[13:14], v[13:14], off offset:1540
	v_lshlrev_b32_e32 v0, 1, v12
	v_add_co_u32 v10, s0, s12, v19
	v_add_co_ci_u32_e64 v20, s0, s13, v20, s0
	v_lshlrev_b64 v[21:22], 2, v[0:1]
	v_add_co_u32 v19, s0, 0x800, v10
	v_lshlrev_b32_e32 v0, 1, v11
	v_add_co_ci_u32_e64 v20, s0, 0, v20, s0
	v_add_co_u32 v12, s0, s12, v21
	v_add_co_ci_u32_e64 v22, s0, s13, v22, s0
	v_lshlrev_b64 v[10:11], 2, v[0:1]
	global_load_dwordx2 v[19:20], v[19:20], off offset:1540
	v_add_co_u32 v21, s0, 0x800, v12
	v_add_co_ci_u32_e64 v22, s0, 0, v22, s0
	v_add_co_u32 v0, s0, s12, v10
	v_add_co_ci_u32_e64 v12, s0, s13, v11, s0
	global_load_dwordx2 v[10:11], v[21:22], off offset:1540
	v_add_co_u32 v21, s0, 0x800, v0
	v_add_co_ci_u32_e64 v22, s0, 0, v12, s0
	global_load_dwordx2 v[21:22], v[21:22], off offset:1540
	ds_read2_b32 v[30:31], v47 offset0:8 offset1:98
	ds_read2_b32 v[32:33], v46 offset0:132 offset1:222
	;; [unrolled: 1-line block ×4, first 2 shown]
	ds_read_u16 v0, v34 offset:3962
	ds_read2_b32 v[52:53], v36 offset0:108 offset1:198
	s_waitcnt lgkmcnt(5)
	v_lshrrev_b32_e32 v56, 16, v30
	s_waitcnt lgkmcnt(4)
	v_lshrrev_b32_e32 v23, 16, v32
	v_lshrrev_b32_e32 v12, 16, v31
	s_waitcnt lgkmcnt(3)
	v_lshrrev_b32_e32 v54, 16, v48
	s_waitcnt lgkmcnt(2)
	v_lshrrev_b32_e32 v55, 16, v50
	v_lshrrev_b32_e32 v57, 16, v49
	s_waitcnt vmcnt(9)
	v_mul_f16_sdwa v58, v6, v23 dst_sel:DWORD dst_unused:UNUSED_PAD src0_sel:WORD_1 src1_sel:DWORD
	v_mul_f16_sdwa v59, v6, v32 dst_sel:DWORD dst_unused:UNUSED_PAD src0_sel:WORD_1 src1_sel:DWORD
	;; [unrolled: 1-line block ×4, first 2 shown]
	v_fmac_f16_e32 v58, v6, v32
	v_fma_f16 v23, v6, v23, -v59
	s_waitcnt vmcnt(8) lgkmcnt(1)
	v_mul_f16_sdwa v32, v0, v2 dst_sel:DWORD dst_unused:UNUSED_PAD src0_sel:DWORD src1_sel:WORD_1
	v_fmac_f16_e32 v60, v7, v30
	v_fma_f16 v30, v7, v56, -v61
	ds_read2_b32 v[6:7], v37 offset0:112 offset1:202
	v_mul_f16_sdwa v56, v12, v3 dst_sel:DWORD dst_unused:UNUSED_PAD src0_sel:DWORD src1_sel:WORD_1
	v_fmac_f16_e32 v32, v2, v33
	v_mul_f16_sdwa v33, v2, v33 dst_sel:DWORD dst_unused:UNUSED_PAD src0_sel:WORD_1 src1_sel:DWORD
	v_mul_f16_sdwa v59, v31, v3 dst_sel:DWORD dst_unused:UNUSED_PAD src0_sel:DWORD src1_sel:WORD_1
	v_lshrrev_b32_e32 v61, 16, v51
	v_fmac_f16_e32 v56, v31, v3
	s_waitcnt vmcnt(7)
	v_mul_f16_sdwa v31, v48, v4 dst_sel:DWORD dst_unused:UNUSED_PAD src0_sel:DWORD src1_sel:WORD_1
	v_fma_f16 v0, v0, v2, -v33
	v_fma_f16 v33, v12, v3, -v59
	v_mul_f16_sdwa v59, v54, v4 dst_sel:DWORD dst_unused:UNUSED_PAD src0_sel:DWORD src1_sel:WORD_1
	v_mul_f16_sdwa v2, v50, v5 dst_sel:DWORD dst_unused:UNUSED_PAD src0_sel:DWORD src1_sel:WORD_1
	v_fma_f16 v31, v54, v4, -v31
	v_mul_f16_sdwa v54, v55, v5 dst_sel:DWORD dst_unused:UNUSED_PAD src0_sel:DWORD src1_sel:WORD_1
	s_waitcnt vmcnt(6)
	v_mul_f16_sdwa v62, v57, v15 dst_sel:DWORD dst_unused:UNUSED_PAD src0_sel:DWORD src1_sel:WORD_1
	v_fmac_f16_e32 v59, v48, v4
	v_fma_f16 v48, v55, v5, -v2
	ds_read2_b32 v[2:3], v39 offset0:160 offset1:250
	s_waitcnt lgkmcnt(2)
	v_lshrrev_b32_e32 v12, 16, v52
	v_fmac_f16_e32 v54, v50, v5
	v_fmac_f16_e32 v62, v49, v15
	v_mul_f16_sdwa v4, v49, v15 dst_sel:DWORD dst_unused:UNUSED_PAD src0_sel:DWORD src1_sel:WORD_1
	v_mul_f16_sdwa v49, v61, v16 dst_sel:DWORD dst_unused:UNUSED_PAD src0_sel:DWORD src1_sel:WORD_1
	;; [unrolled: 1-line block ×3, first 2 shown]
	s_waitcnt lgkmcnt(1)
	v_lshrrev_b32_e32 v50, 16, v6
	v_lshrrev_b32_e32 v55, 16, v53
	v_fma_f16 v15, v57, v15, -v4
	v_fmac_f16_e32 v49, v51, v16
	v_fma_f16 v16, v61, v16, -v5
	ds_read2_b32 v[4:5], v40 offset0:36 offset1:126
	s_waitcnt vmcnt(5)
	v_mul_f16_sdwa v51, v52, v8 dst_sel:DWORD dst_unused:UNUSED_PAD src0_sel:DWORD src1_sel:WORD_1
	v_mul_f16_sdwa v57, v6, v9 dst_sel:DWORD dst_unused:UNUSED_PAD src0_sel:DWORD src1_sel:WORD_1
	;; [unrolled: 1-line block ×4, first 2 shown]
	v_lshrrev_b32_e32 v64, 16, v7
	v_fma_f16 v51, v12, v8, -v51
	v_fma_f16 v50, v50, v9, -v57
	v_fmac_f16_e32 v61, v52, v8
	s_waitcnt vmcnt(4)
	v_mul_f16_sdwa v52, v55, v17 dst_sel:DWORD dst_unused:UNUSED_PAD src0_sel:DWORD src1_sel:WORD_1
	v_mul_f16_sdwa v57, v64, v18 dst_sel:DWORD dst_unused:UNUSED_PAD src0_sel:DWORD src1_sel:WORD_1
	v_fmac_f16_e32 v63, v6, v9
	v_mul_f16_sdwa v6, v53, v17 dst_sel:DWORD dst_unused:UNUSED_PAD src0_sel:DWORD src1_sel:WORD_1
	v_mul_f16_sdwa v8, v7, v18 dst_sel:DWORD dst_unused:UNUSED_PAD src0_sel:DWORD src1_sel:WORD_1
	v_fmac_f16_e32 v52, v53, v17
	v_fmac_f16_e32 v57, v7, v18
	s_waitcnt lgkmcnt(1)
	v_lshrrev_b32_e32 v12, 16, v2
	v_fma_f16 v17, v55, v17, -v6
	v_fma_f16 v18, v64, v18, -v8
	ds_read2_b32 v[6:7], v43 offset0:84 offset1:174
	ds_read2_b32 v[8:9], v44 offset0:88 offset1:178
	s_waitcnt vmcnt(3)
	v_mul_f16_sdwa v53, v2, v13 dst_sel:DWORD dst_unused:UNUSED_PAD src0_sel:DWORD src1_sel:WORD_1
	v_mul_f16_sdwa v65, v12, v13 dst_sel:DWORD dst_unused:UNUSED_PAD src0_sel:DWORD src1_sel:WORD_1
	s_waitcnt lgkmcnt(2)
	v_lshrrev_b32_e32 v55, 16, v4
	v_mul_f16_sdwa v64, v4, v14 dst_sel:DWORD dst_unused:UNUSED_PAD src0_sel:DWORD src1_sel:WORD_1
	v_lshrrev_b32_e32 v66, 16, v3
	v_fma_f16 v53, v12, v13, -v53
	v_fmac_f16_e32 v65, v2, v13
	ds_read2_b32 v[12:13], v34 offset1:90
	v_mul_f16_sdwa v67, v55, v14 dst_sel:DWORD dst_unused:UNUSED_PAD src0_sel:DWORD src1_sel:WORD_1
	v_lshrrev_b32_e32 v68, 16, v5
	v_fma_f16 v55, v55, v14, -v64
	s_waitcnt vmcnt(2)
	v_mul_f16_sdwa v64, v66, v19 dst_sel:DWORD dst_unused:UNUSED_PAD src0_sel:DWORD src1_sel:WORD_1
	v_mul_f16_sdwa v2, v3, v19 dst_sel:DWORD dst_unused:UNUSED_PAD src0_sel:DWORD src1_sel:WORD_1
	;; [unrolled: 1-line block ×4, first 2 shown]
	v_fmac_f16_e32 v67, v4, v14
	v_fmac_f16_e32 v64, v3, v19
	v_fma_f16 v14, v66, v19, -v2
	s_waitcnt lgkmcnt(2)
	v_lshrrev_b32_e32 v2, 16, v6
	s_waitcnt lgkmcnt(1)
	v_lshrrev_b32_e32 v3, 16, v8
	v_fmac_f16_e32 v69, v5, v20
	v_fma_f16 v19, v68, v20, -v70
	s_waitcnt vmcnt(1)
	v_mul_f16_sdwa v4, v6, v10 dst_sel:DWORD dst_unused:UNUSED_PAD src0_sel:DWORD src1_sel:WORD_1
	v_lshrrev_b32_e32 v5, 16, v7
	v_mul_f16_sdwa v20, v8, v11 dst_sel:DWORD dst_unused:UNUSED_PAD src0_sel:DWORD src1_sel:WORD_1
	v_mul_f16_sdwa v66, v2, v10 dst_sel:DWORD dst_unused:UNUSED_PAD src0_sel:DWORD src1_sel:WORD_1
	;; [unrolled: 1-line block ×3, first 2 shown]
	v_fma_f16 v70, v2, v10, -v4
	s_waitcnt vmcnt(0)
	v_mul_f16_sdwa v71, v5, v21 dst_sel:DWORD dst_unused:UNUSED_PAD src0_sel:DWORD src1_sel:WORD_1
	v_fma_f16 v20, v3, v11, -v20
	v_fmac_f16_e32 v66, v6, v10
	v_fmac_f16_e32 v68, v8, v11
	s_waitcnt lgkmcnt(0)
	v_lshrrev_b32_e32 v10, 16, v12
	v_lshrrev_b32_e32 v11, 16, v13
	;; [unrolled: 1-line block ×3, first 2 shown]
	v_fmac_f16_e32 v71, v7, v21
	v_mul_f16_sdwa v3, v7, v21 dst_sel:DWORD dst_unused:UNUSED_PAD src0_sel:DWORD src1_sel:WORD_1
	v_add_f16_e32 v4, v12, v58
	v_add_f16_e32 v6, v10, v23
	;; [unrolled: 1-line block ×5, first 2 shown]
	v_mul_f16_sdwa v72, v2, v22 dst_sel:DWORD dst_unused:UNUSED_PAD src0_sel:DWORD src1_sel:WORD_1
	v_mul_f16_sdwa v73, v9, v22 dst_sel:DWORD dst_unused:UNUSED_PAD src0_sel:DWORD src1_sel:WORD_1
	v_add_f16_e32 v4, v4, v60
	v_add_f16_e32 v6, v6, v30
	;; [unrolled: 1-line block ×4, first 2 shown]
	v_sub_f16_e32 v23, v23, v30
	v_add_f16_e32 v30, v32, v56
	v_add_f16_e32 v76, v58, v60
	v_fmac_f16_e32 v10, -0.5, v75
	v_add_f16_e32 v75, v0, v33
	v_fmac_f16_e32 v72, v9, v22
	v_fma_f16 v21, v5, v21, -v3
	v_fma_f16 v22, v2, v22, -v73
	v_pack_b32_f16 v73, v4, v6
	v_pack_b32_f16 v74, v7, v8
	ds_read2_b32 v[2:3], v45 offset0:52 offset1:142
	ds_read2_b32 v[4:5], v38 offset0:104 offset1:194
	;; [unrolled: 1-line block ×4, first 2 shown]
	v_sub_f16_e32 v58, v58, v60
	v_fmac_f16_e32 v13, -0.5, v30
	v_fma_f16 v12, -0.5, v76, v12
	v_sub_f16_e32 v0, v0, v33
	v_fmac_f16_e32 v11, -0.5, v75
	v_sub_f16_e32 v30, v32, v56
	v_fmamk_f16 v33, v58, 0x3aee, v10
	v_fmamk_f16 v32, v23, 0xbaee, v12
	;; [unrolled: 1-line block ×3, first 2 shown]
	v_fmac_f16_e32 v13, 0x3aee, v0
	v_fmamk_f16 v60, v30, 0x3aee, v11
	v_fmac_f16_e32 v11, 0xbaee, v30
	v_fmac_f16_e32 v12, 0x3aee, v23
	;; [unrolled: 1-line block ×3, first 2 shown]
	v_pack_b32_f16 v0, v32, v33
	v_pack_b32_f16 v23, v56, v60
	;; [unrolled: 1-line block ×3, first 2 shown]
	s_waitcnt lgkmcnt(0)
	v_pack_b32_f16 v10, v12, v10
	s_barrier
	buffer_gl0_inv
	ds_write2_b32 v34, v73, v74 offset1:90
	ds_write2_b32 v46, v0, v23 offset0:132 offset1:222
	v_add_f16_e32 v0, v59, v54
	v_lshrrev_b32_e32 v12, 16, v2
	ds_write2_b32 v47, v10, v11 offset0:8 offset1:98
	v_add_f16_e32 v10, v31, v48
	v_add_f16_e32 v11, v2, v59
	v_fma_f16 v0, -0.5, v0, v2
	v_sub_f16_e32 v2, v31, v48
	v_add_f16_e32 v13, v12, v31
	v_fmac_f16_e32 v12, -0.5, v10
	v_add_f16_e32 v10, v11, v54
	v_sub_f16_e32 v11, v59, v54
	v_fmamk_f16 v23, v2, 0xbaee, v0
	v_fmac_f16_e32 v0, 0x3aee, v2
	v_add_f16_e32 v2, v13, v48
	v_add_f16_e32 v13, v62, v49
	v_fmamk_f16 v30, v11, 0x3aee, v12
	v_lshrrev_b32_e32 v31, 16, v3
	v_fmac_f16_e32 v12, 0xbaee, v11
	v_add_f16_e32 v11, v15, v16
	v_add_f16_e32 v32, v3, v62
	v_fmac_f16_e32 v3, -0.5, v13
	v_add_f16_e32 v13, v31, v15
	v_sub_f16_e32 v15, v15, v16
	v_fmac_f16_e32 v31, -0.5, v11
	v_add_f16_e32 v11, v32, v49
	v_add_f16_e32 v32, v61, v63
	v_sub_f16_e32 v33, v62, v49
	v_fmamk_f16 v34, v15, 0xbaee, v3
	v_fmac_f16_e32 v3, 0x3aee, v15
	v_add_f16_e32 v13, v13, v16
	v_fma_f16 v15, -0.5, v32, v4
	v_sub_f16_e32 v16, v51, v50
	v_fmamk_f16 v32, v33, 0x3aee, v31
	v_fmac_f16_e32 v31, 0xbaee, v33
	v_lshrrev_b32_e32 v33, 16, v4
	v_add_f16_e32 v46, v51, v50
	v_fmamk_f16 v47, v16, 0xbaee, v15
	v_fmac_f16_e32 v15, 0x3aee, v16
	v_pack_b32_f16 v2, v10, v2
	v_add_f16_e32 v16, v33, v51
	v_pack_b32_f16 v10, v11, v13
	v_fmac_f16_e32 v33, -0.5, v46
	v_sub_f16_e32 v11, v61, v63
	v_sub_f16_e32 v46, v52, v57
	v_add_f16_e32 v13, v16, v50
	v_lshrrev_b32_e32 v16, 16, v5
	ds_write2_b32 v45, v2, v10 offset0:52 offset1:142
	v_add_f16_e32 v2, v52, v57
	v_fmamk_f16 v10, v11, 0x3aee, v33
	v_fmac_f16_e32 v33, 0xbaee, v11
	v_add_f16_e32 v11, v17, v18
	v_add_f16_e32 v45, v5, v52
	v_fmac_f16_e32 v5, -0.5, v2
	v_sub_f16_e32 v2, v17, v18
	v_add_f16_e32 v17, v16, v17
	v_fmac_f16_e32 v16, -0.5, v11
	v_lshrrev_b32_e32 v11, 16, v6
	v_pack_b32_f16 v3, v3, v31
	v_fmamk_f16 v48, v2, 0xbaee, v5
	v_fmac_f16_e32 v5, 0x3aee, v2
	v_add_f16_e32 v2, v17, v18
	v_add_f16_e32 v18, v65, v67
	v_fmamk_f16 v17, v46, 0x3aee, v16
	v_fmac_f16_e32 v16, 0xbaee, v46
	v_add_f16_e32 v46, v53, v55
	v_add_f16_e32 v31, v6, v65
	v_fma_f16 v6, -0.5, v18, v6
	v_sub_f16_e32 v18, v53, v55
	v_add_f16_e32 v49, v11, v53
	v_fmac_f16_e32 v11, -0.5, v46
	v_sub_f16_e32 v50, v65, v67
	v_lshrrev_b32_e32 v46, 16, v7
	v_fmamk_f16 v51, v18, 0xbaee, v6
	v_fmac_f16_e32 v6, 0x3aee, v18
	v_add_f16_e32 v18, v64, v69
	v_fmamk_f16 v52, v50, 0x3aee, v11
	v_fmac_f16_e32 v11, 0xbaee, v50
	v_add_f16_e32 v50, v14, v19
	v_add_f16_e32 v53, v7, v64
	;; [unrolled: 1-line block ×3, first 2 shown]
	v_fmac_f16_e32 v7, -0.5, v18
	v_sub_f16_e32 v18, v14, v19
	v_add_f16_e32 v55, v66, v68
	v_add_f16_e32 v14, v46, v14
	v_fmac_f16_e32 v46, -0.5, v50
	v_add_f16_e32 v50, v53, v69
	v_sub_f16_e32 v53, v64, v69
	v_add_f16_e32 v4, v4, v61
	v_fmamk_f16 v54, v18, 0xbaee, v7
	v_fmac_f16_e32 v7, 0x3aee, v18
	v_lshrrev_b32_e32 v18, 16, v8
	v_add_f16_e32 v56, v8, v66
	v_fma_f16 v8, -0.5, v55, v8
	v_sub_f16_e32 v55, v70, v20
	v_add_f16_e32 v14, v14, v19
	v_fmamk_f16 v19, v53, 0x3aee, v46
	v_fmac_f16_e32 v46, 0xbaee, v53
	v_add_f16_e32 v53, v70, v20
	v_add_f16_e32 v58, v71, v72
	;; [unrolled: 1-line block ×4, first 2 shown]
	v_pack_b32_f16 v23, v23, v30
	v_pack_b32_f16 v30, v34, v32
	;; [unrolled: 1-line block ×3, first 2 shown]
	v_fmamk_f16 v59, v55, 0xbaee, v8
	v_fmac_f16_e32 v8, 0x3aee, v55
	v_lshrrev_b32_e32 v55, 16, v9
	v_add_f16_e32 v57, v18, v70
	v_fmac_f16_e32 v18, -0.5, v53
	v_add_f16_e32 v53, v56, v68
	v_sub_f16_e32 v56, v66, v68
	v_add_f16_e32 v60, v9, v71
	v_fmac_f16_e32 v9, -0.5, v58
	v_sub_f16_e32 v58, v21, v22
	v_add_f16_e32 v61, v21, v22
	v_add_f16_e32 v31, v31, v67
	ds_write2_b32 v25, v23, v30 offset0:56 offset1:146
	ds_write2_b32 v35, v0, v3 offset0:60 offset1:150
	v_pack_b32_f16 v0, v4, v13
	v_pack_b32_f16 v2, v45, v2
	v_add_f16_e32 v21, v55, v21
	v_add_f16_e32 v20, v57, v20
	v_fmamk_f16 v57, v56, 0x3aee, v18
	v_fmac_f16_e32 v18, 0xbaee, v56
	v_fmamk_f16 v56, v58, 0xbaee, v9
	v_fmac_f16_e32 v9, 0x3aee, v58
	v_fmac_f16_e32 v55, -0.5, v61
	v_add_f16_e32 v58, v60, v72
	v_sub_f16_e32 v60, v71, v72
	v_pack_b32_f16 v3, v47, v10
	v_pack_b32_f16 v10, v48, v17
	ds_write2_b32 v38, v0, v2 offset0:104 offset1:194
	v_pack_b32_f16 v0, v31, v49
	v_pack_b32_f16 v2, v50, v14
	;; [unrolled: 1-line block ×4, first 2 shown]
	v_add_f16_e32 v12, v21, v22
	v_fmamk_f16 v21, v60, 0x3aee, v55
	v_fmac_f16_e32 v55, 0xbaee, v60
	ds_write2_b32 v36, v3, v10 offset0:108 offset1:198
	ds_write2_b32 v37, v4, v5 offset0:112 offset1:202
	v_pack_b32_f16 v3, v51, v52
	ds_write2_b32 v41, v0, v2 offset0:28 offset1:118
	v_pack_b32_f16 v0, v54, v19
	v_pack_b32_f16 v4, v6, v11
	;; [unrolled: 1-line block ×9, first 2 shown]
	ds_write2_b32 v39, v3, v0 offset0:160 offset1:250
	ds_write2_b32 v40, v4, v2 offset0:36 offset1:126
	;; [unrolled: 1-line block ×5, first 2 shown]
	s_waitcnt lgkmcnt(0)
	s_barrier
	buffer_gl0_inv
	s_and_saveexec_b32 s0, vcc_lo
	s_cbranch_execz .LBB0_21
; %bb.20:
	v_mul_lo_u32 v0, s3, v28
	v_mul_lo_u32 v4, s2, v29
	v_mad_u64_u32 v[2:3], null, s2, v28, 0
	v_lshl_add_u32 v18, v24, 2, 0
	v_mov_b32_e32 v25, v1
	ds_read2_b32 v[6:7], v18 offset1:90
	v_add3_u32 v3, v3, v4, v0
	v_lshlrev_b64 v[4:5], 2, v[26:27]
	v_add_nc_u32_e32 v0, 0x5a, v24
	v_add_nc_u32_e32 v12, 0x200, v18
	v_lshlrev_b64 v[8:9], 2, v[24:25]
	v_lshlrev_b64 v[2:3], 2, v[2:3]
	v_lshlrev_b64 v[10:11], 2, v[0:1]
	v_add_nc_u32_e32 v0, 0xb4, v24
	ds_read2_b32 v[12:13], v12 offset0:52 offset1:142
	v_add_co_u32 v14, vcc_lo, s10, v2
	v_add_co_ci_u32_e32 v15, vcc_lo, s11, v3, vcc_lo
	v_lshlrev_b64 v[2:3], 2, v[0:1]
	v_add_co_u32 v19, vcc_lo, v14, v4
	v_add_co_ci_u32_e32 v20, vcc_lo, v15, v5, vcc_lo
	v_add_nc_u32_e32 v0, 0x10e, v24
	v_add_co_u32 v4, vcc_lo, v19, v8
	v_add_co_ci_u32_e32 v5, vcc_lo, v20, v9, vcc_lo
	v_add_co_u32 v8, vcc_lo, v19, v10
	v_add_co_ci_u32_e32 v9, vcc_lo, v20, v11, vcc_lo
	s_waitcnt lgkmcnt(1)
	global_store_dword v[4:5], v6, off
	v_lshlrev_b64 v[4:5], 2, v[0:1]
	v_add_co_u32 v2, vcc_lo, v19, v2
	v_add_nc_u32_e32 v0, 0x168, v24
	v_add_co_ci_u32_e32 v3, vcc_lo, v20, v3, vcc_lo
	v_add_co_u32 v4, vcc_lo, v19, v4
	v_add_co_ci_u32_e32 v5, vcc_lo, v20, v5, vcc_lo
	v_add_nc_u32_e32 v6, 0x400, v18
	v_lshlrev_b64 v[10:11], 2, v[0:1]
	v_add_nc_u32_e32 v0, 0x1c2, v24
	global_store_dword v[8:9], v7, off
	s_waitcnt lgkmcnt(0)
	global_store_dword v[2:3], v12, off
	global_store_dword v[4:5], v13, off
	v_add_nc_u32_e32 v8, 0x800, v18
	ds_read2_b32 v[2:3], v6 offset0:104 offset1:194
	v_add_nc_u32_e32 v14, 0xa00, v18
	v_lshlrev_b64 v[4:5], 2, v[0:1]
	v_add_nc_u32_e32 v0, 0x21c, v24
	ds_read2_b32 v[8:9], v8 offset0:28 offset1:118
	v_add_co_u32 v6, vcc_lo, v19, v10
	v_add_co_ci_u32_e32 v7, vcc_lo, v20, v11, vcc_lo
	v_lshlrev_b64 v[10:11], 2, v[0:1]
	v_add_nc_u32_e32 v0, 0x276, v24
	v_add_co_u32 v4, vcc_lo, v19, v4
	v_add_co_ci_u32_e32 v5, vcc_lo, v20, v5, vcc_lo
	v_lshlrev_b64 v[12:13], 2, v[0:1]
	v_add_nc_u32_e32 v0, 0x2d0, v24
	v_add_co_u32 v10, vcc_lo, v19, v10
	ds_read2_b32 v[14:15], v14 offset0:80 offset1:170
	v_add_co_ci_u32_e32 v11, vcc_lo, v20, v11, vcc_lo
	v_lshlrev_b64 v[16:17], 2, v[0:1]
	v_add_nc_u32_e32 v0, 0x32a, v24
	v_add_co_u32 v12, vcc_lo, v19, v12
	v_add_co_ci_u32_e32 v13, vcc_lo, v20, v13, vcc_lo
	s_waitcnt lgkmcnt(2)
	global_store_dword v[6:7], v2, off
	global_store_dword v[4:5], v3, off
	s_waitcnt lgkmcnt(1)
	global_store_dword v[10:11], v8, off
	global_store_dword v[12:13], v9, off
	v_lshlrev_b64 v[2:3], 2, v[0:1]
	v_add_co_u32 v4, vcc_lo, v19, v16
	v_add_co_ci_u32_e32 v5, vcc_lo, v20, v17, vcc_lo
	v_add_nc_u32_e32 v0, 0x384, v24
	v_add_co_u32 v2, vcc_lo, v19, v2
	v_add_co_ci_u32_e32 v3, vcc_lo, v20, v3, vcc_lo
	v_add_nc_u32_e32 v8, 0xc00, v18
	v_add_nc_u32_e32 v9, 0x1000, v18
	v_lshlrev_b64 v[6:7], 2, v[0:1]
	v_add_nc_u32_e32 v0, 0x3de, v24
	s_waitcnt lgkmcnt(0)
	global_store_dword v[2:3], v15, off
	ds_read2_b32 v[2:3], v8 offset0:132 offset1:222
	ds_read2_b32 v[8:9], v9 offset0:56 offset1:146
	global_store_dword v[4:5], v14, off
	v_lshlrev_b64 v[4:5], 2, v[0:1]
	v_add_nc_u32_e32 v0, 0x438, v24
	v_add_co_u32 v6, vcc_lo, v19, v6
	v_add_co_ci_u32_e32 v7, vcc_lo, v20, v7, vcc_lo
	v_lshlrev_b64 v[10:11], 2, v[0:1]
	v_add_co_u32 v4, vcc_lo, v19, v4
	v_add_co_ci_u32_e32 v5, vcc_lo, v20, v5, vcc_lo
	v_add_nc_u32_e32 v0, 0x492, v24
	v_add_co_u32 v10, vcc_lo, v19, v10
	v_add_nc_u32_e32 v14, 0x1200, v18
	v_add_co_ci_u32_e32 v11, vcc_lo, v20, v11, vcc_lo
	v_lshlrev_b64 v[12:13], 2, v[0:1]
	v_add_nc_u32_e32 v0, 0x4ec, v24
	s_waitcnt lgkmcnt(1)
	global_store_dword v[6:7], v2, off
	global_store_dword v[4:5], v3, off
	s_waitcnt lgkmcnt(0)
	global_store_dword v[10:11], v8, off
	ds_read2_b32 v[2:3], v14 offset0:108 offset1:198
	v_add_nc_u32_e32 v8, 0x1400, v18
	v_add_nc_u32_e32 v14, 0x1c00, v18
	v_lshlrev_b64 v[4:5], 2, v[0:1]
	v_add_nc_u32_e32 v0, 0x546, v24
	v_add_co_u32 v6, vcc_lo, v19, v12
	v_add_co_ci_u32_e32 v7, vcc_lo, v20, v13, vcc_lo
	v_lshlrev_b64 v[10:11], 2, v[0:1]
	v_add_co_u32 v4, vcc_lo, v19, v4
	v_add_co_ci_u32_e32 v5, vcc_lo, v20, v5, vcc_lo
	v_add_nc_u32_e32 v0, 0x5a0, v24
	v_add_co_u32 v10, vcc_lo, v19, v10
	v_add_co_ci_u32_e32 v11, vcc_lo, v20, v11, vcc_lo
	v_lshlrev_b64 v[12:13], 2, v[0:1]
	v_add_nc_u32_e32 v0, 0x5fa, v24
	global_store_dword v[6:7], v9, off
	s_waitcnt lgkmcnt(0)
	global_store_dword v[4:5], v2, off
	global_store_dword v[10:11], v3, off
	ds_read2_b32 v[2:3], v8 offset0:160 offset1:250
	v_add_nc_u32_e32 v8, 0x1800, v18
	ds_read2_b32 v[14:15], v14 offset0:8 offset1:98
	v_lshlrev_b64 v[4:5], 2, v[0:1]
	v_add_nc_u32_e32 v0, 0x654, v24
	v_add_co_u32 v6, vcc_lo, v19, v12
	ds_read2_b32 v[8:9], v8 offset0:84 offset1:174
	v_add_co_ci_u32_e32 v7, vcc_lo, v20, v13, vcc_lo
	v_lshlrev_b64 v[10:11], 2, v[0:1]
	v_add_nc_u32_e32 v0, 0x6ae, v24
	v_add_co_u32 v4, vcc_lo, v19, v4
	v_add_co_ci_u32_e32 v5, vcc_lo, v20, v5, vcc_lo
	v_lshlrev_b64 v[12:13], 2, v[0:1]
	v_add_nc_u32_e32 v0, 0x708, v24
	v_add_co_u32 v10, vcc_lo, v19, v10
	;; [unrolled: 4-line block ×3, first 2 shown]
	v_add_co_ci_u32_e32 v13, vcc_lo, v20, v13, vcc_lo
	s_waitcnt lgkmcnt(2)
	global_store_dword v[6:7], v2, off
	global_store_dword v[4:5], v3, off
	s_waitcnt lgkmcnt(0)
	global_store_dword v[10:11], v8, off
	global_store_dword v[12:13], v9, off
	v_lshlrev_b64 v[2:3], 2, v[0:1]
	v_add_co_u32 v4, vcc_lo, v19, v16
	v_add_co_ci_u32_e32 v5, vcc_lo, v20, v17, vcc_lo
	v_add_nc_u32_e32 v0, 0x7bc, v24
	v_add_co_u32 v2, vcc_lo, v19, v2
	v_add_co_ci_u32_e32 v3, vcc_lo, v20, v3, vcc_lo
	v_add_nc_u32_e32 v8, 0x1e00, v18
	v_add_nc_u32_e32 v9, 0x2000, v18
	v_lshlrev_b64 v[6:7], 2, v[0:1]
	v_add_nc_u32_e32 v0, 0x816, v24
	global_store_dword v[4:5], v14, off
	global_store_dword v[2:3], v15, off
	ds_read2_b32 v[2:3], v8 offset0:60 offset1:150
	ds_read2_b32 v[8:9], v9 offset0:112 offset1:202
	v_lshlrev_b64 v[4:5], 2, v[0:1]
	v_add_nc_u32_e32 v0, 0x870, v24
	v_add_co_u32 v6, vcc_lo, v19, v6
	v_add_co_ci_u32_e32 v7, vcc_lo, v20, v7, vcc_lo
	v_lshlrev_b64 v[10:11], 2, v[0:1]
	v_add_nc_u32_e32 v0, 0x8ca, v24
	v_add_co_u32 v4, vcc_lo, v19, v4
	v_add_co_ci_u32_e32 v5, vcc_lo, v20, v5, vcc_lo
	v_add_co_u32 v10, vcc_lo, v19, v10
	v_lshlrev_b64 v[12:13], 2, v[0:1]
	v_add_nc_u32_e32 v0, 0x924, v24
	v_add_co_ci_u32_e32 v11, vcc_lo, v20, v11, vcc_lo
	s_waitcnt lgkmcnt(1)
	global_store_dword v[6:7], v2, off
	global_store_dword v[4:5], v3, off
	s_waitcnt lgkmcnt(0)
	global_store_dword v[10:11], v8, off
	v_add_nc_u32_e32 v6, 0x2400, v18
	v_lshlrev_b64 v[2:3], 2, v[0:1]
	v_add_nc_u32_e32 v0, 0x97e, v24
	v_add_nc_u32_e32 v8, 0x2600, v18
	v_add_co_u32 v4, vcc_lo, v19, v12
	ds_read2_b32 v[6:7], v6 offset0:36 offset1:126
	v_lshlrev_b64 v[10:11], 2, v[0:1]
	v_add_nc_u32_e32 v0, 0x9d8, v24
	v_add_co_ci_u32_e32 v5, vcc_lo, v20, v13, vcc_lo
	ds_read2_b32 v[12:13], v8 offset0:88 offset1:178
	v_add_co_u32 v2, vcc_lo, v19, v2
	v_lshlrev_b64 v[14:15], 2, v[0:1]
	v_add_nc_u32_e32 v0, 0xa32, v24
	v_add_co_ci_u32_e32 v3, vcc_lo, v20, v3, vcc_lo
	v_add_co_u32 v10, vcc_lo, v19, v10
	v_lshlrev_b64 v[0:1], 2, v[0:1]
	v_add_co_ci_u32_e32 v11, vcc_lo, v20, v11, vcc_lo
	v_add_co_u32 v14, vcc_lo, v19, v14
	v_add_co_ci_u32_e32 v15, vcc_lo, v20, v15, vcc_lo
	v_add_co_u32 v0, vcc_lo, v19, v0
	v_add_co_ci_u32_e32 v1, vcc_lo, v20, v1, vcc_lo
	global_store_dword v[4:5], v9, off
	s_waitcnt lgkmcnt(1)
	global_store_dword v[2:3], v6, off
	global_store_dword v[10:11], v7, off
	s_waitcnt lgkmcnt(0)
	global_store_dword v[14:15], v12, off
	global_store_dword v[0:1], v13, off
.LBB0_21:
	s_endpgm
	.section	.rodata,"a",@progbits
	.p2align	6, 0x0
	.amdhsa_kernel fft_rtc_back_len2700_factors_3_10_10_3_3_wgs_90_tpt_90_halfLds_half_op_CI_CI_unitstride_sbrr_C2R_dirReg
		.amdhsa_group_segment_fixed_size 0
		.amdhsa_private_segment_fixed_size 0
		.amdhsa_kernarg_size 104
		.amdhsa_user_sgpr_count 6
		.amdhsa_user_sgpr_private_segment_buffer 1
		.amdhsa_user_sgpr_dispatch_ptr 0
		.amdhsa_user_sgpr_queue_ptr 0
		.amdhsa_user_sgpr_kernarg_segment_ptr 1
		.amdhsa_user_sgpr_dispatch_id 0
		.amdhsa_user_sgpr_flat_scratch_init 0
		.amdhsa_user_sgpr_private_segment_size 0
		.amdhsa_wavefront_size32 1
		.amdhsa_uses_dynamic_stack 0
		.amdhsa_system_sgpr_private_segment_wavefront_offset 0
		.amdhsa_system_sgpr_workgroup_id_x 1
		.amdhsa_system_sgpr_workgroup_id_y 0
		.amdhsa_system_sgpr_workgroup_id_z 0
		.amdhsa_system_sgpr_workgroup_info 0
		.amdhsa_system_vgpr_workitem_id 0
		.amdhsa_next_free_vgpr 144
		.amdhsa_next_free_sgpr 27
		.amdhsa_reserve_vcc 1
		.amdhsa_reserve_flat_scratch 0
		.amdhsa_float_round_mode_32 0
		.amdhsa_float_round_mode_16_64 0
		.amdhsa_float_denorm_mode_32 3
		.amdhsa_float_denorm_mode_16_64 3
		.amdhsa_dx10_clamp 1
		.amdhsa_ieee_mode 1
		.amdhsa_fp16_overflow 0
		.amdhsa_workgroup_processor_mode 1
		.amdhsa_memory_ordered 1
		.amdhsa_forward_progress 0
		.amdhsa_shared_vgpr_count 0
		.amdhsa_exception_fp_ieee_invalid_op 0
		.amdhsa_exception_fp_denorm_src 0
		.amdhsa_exception_fp_ieee_div_zero 0
		.amdhsa_exception_fp_ieee_overflow 0
		.amdhsa_exception_fp_ieee_underflow 0
		.amdhsa_exception_fp_ieee_inexact 0
		.amdhsa_exception_int_div_zero 0
	.end_amdhsa_kernel
	.text
.Lfunc_end0:
	.size	fft_rtc_back_len2700_factors_3_10_10_3_3_wgs_90_tpt_90_halfLds_half_op_CI_CI_unitstride_sbrr_C2R_dirReg, .Lfunc_end0-fft_rtc_back_len2700_factors_3_10_10_3_3_wgs_90_tpt_90_halfLds_half_op_CI_CI_unitstride_sbrr_C2R_dirReg
                                        ; -- End function
	.section	.AMDGPU.csdata,"",@progbits
; Kernel info:
; codeLenInByte = 21256
; NumSgprs: 29
; NumVgprs: 144
; ScratchSize: 0
; MemoryBound: 0
; FloatMode: 240
; IeeeMode: 1
; LDSByteSize: 0 bytes/workgroup (compile time only)
; SGPRBlocks: 3
; VGPRBlocks: 17
; NumSGPRsForWavesPerEU: 29
; NumVGPRsForWavesPerEU: 144
; Occupancy: 7
; WaveLimiterHint : 1
; COMPUTE_PGM_RSRC2:SCRATCH_EN: 0
; COMPUTE_PGM_RSRC2:USER_SGPR: 6
; COMPUTE_PGM_RSRC2:TRAP_HANDLER: 0
; COMPUTE_PGM_RSRC2:TGID_X_EN: 1
; COMPUTE_PGM_RSRC2:TGID_Y_EN: 0
; COMPUTE_PGM_RSRC2:TGID_Z_EN: 0
; COMPUTE_PGM_RSRC2:TIDIG_COMP_CNT: 0
	.text
	.p2alignl 6, 3214868480
	.fill 48, 4, 3214868480
	.type	__hip_cuid_6b89d5a06fd7cf72,@object ; @__hip_cuid_6b89d5a06fd7cf72
	.section	.bss,"aw",@nobits
	.globl	__hip_cuid_6b89d5a06fd7cf72
__hip_cuid_6b89d5a06fd7cf72:
	.byte	0                               ; 0x0
	.size	__hip_cuid_6b89d5a06fd7cf72, 1

	.ident	"AMD clang version 19.0.0git (https://github.com/RadeonOpenCompute/llvm-project roc-6.4.0 25133 c7fe45cf4b819c5991fe208aaa96edf142730f1d)"
	.section	".note.GNU-stack","",@progbits
	.addrsig
	.addrsig_sym __hip_cuid_6b89d5a06fd7cf72
	.amdgpu_metadata
---
amdhsa.kernels:
  - .args:
      - .actual_access:  read_only
        .address_space:  global
        .offset:         0
        .size:           8
        .value_kind:     global_buffer
      - .offset:         8
        .size:           8
        .value_kind:     by_value
      - .actual_access:  read_only
        .address_space:  global
        .offset:         16
        .size:           8
        .value_kind:     global_buffer
      - .actual_access:  read_only
        .address_space:  global
        .offset:         24
        .size:           8
        .value_kind:     global_buffer
      - .actual_access:  read_only
        .address_space:  global
        .offset:         32
        .size:           8
        .value_kind:     global_buffer
      - .offset:         40
        .size:           8
        .value_kind:     by_value
      - .actual_access:  read_only
        .address_space:  global
        .offset:         48
        .size:           8
        .value_kind:     global_buffer
      - .actual_access:  read_only
        .address_space:  global
        .offset:         56
        .size:           8
        .value_kind:     global_buffer
      - .offset:         64
        .size:           4
        .value_kind:     by_value
      - .actual_access:  read_only
        .address_space:  global
        .offset:         72
        .size:           8
        .value_kind:     global_buffer
      - .actual_access:  read_only
        .address_space:  global
        .offset:         80
        .size:           8
        .value_kind:     global_buffer
      - .actual_access:  read_only
        .address_space:  global
        .offset:         88
        .size:           8
        .value_kind:     global_buffer
      - .actual_access:  write_only
        .address_space:  global
        .offset:         96
        .size:           8
        .value_kind:     global_buffer
    .group_segment_fixed_size: 0
    .kernarg_segment_align: 8
    .kernarg_segment_size: 104
    .language:       OpenCL C
    .language_version:
      - 2
      - 0
    .max_flat_workgroup_size: 90
    .name:           fft_rtc_back_len2700_factors_3_10_10_3_3_wgs_90_tpt_90_halfLds_half_op_CI_CI_unitstride_sbrr_C2R_dirReg
    .private_segment_fixed_size: 0
    .sgpr_count:     29
    .sgpr_spill_count: 0
    .symbol:         fft_rtc_back_len2700_factors_3_10_10_3_3_wgs_90_tpt_90_halfLds_half_op_CI_CI_unitstride_sbrr_C2R_dirReg.kd
    .uniform_work_group_size: 1
    .uses_dynamic_stack: false
    .vgpr_count:     144
    .vgpr_spill_count: 0
    .wavefront_size: 32
    .workgroup_processor_mode: 1
amdhsa.target:   amdgcn-amd-amdhsa--gfx1030
amdhsa.version:
  - 1
  - 2
...

	.end_amdgpu_metadata
